;; amdgpu-corpus repo=ROCm/rocFFT kind=compiled arch=gfx1030 opt=O3
	.text
	.amdgcn_target "amdgcn-amd-amdhsa--gfx1030"
	.amdhsa_code_object_version 6
	.protected	bluestein_single_fwd_len455_dim1_dp_op_CI_CI ; -- Begin function bluestein_single_fwd_len455_dim1_dp_op_CI_CI
	.globl	bluestein_single_fwd_len455_dim1_dp_op_CI_CI
	.p2align	8
	.type	bluestein_single_fwd_len455_dim1_dp_op_CI_CI,@function
bluestein_single_fwd_len455_dim1_dp_op_CI_CI: ; @bluestein_single_fwd_len455_dim1_dp_op_CI_CI
; %bb.0:
	s_load_dwordx4 s[0:3], s[4:5], 0x28
	v_mul_u32_u24_e32 v1, 0x3f1, v0
	v_lshrrev_b32_e32 v1, 16, v1
	v_mad_u64_u32 v[128:129], null, s6, 3, v[1:2]
	v_mov_b32_e32 v129, 0
	s_waitcnt lgkmcnt(0)
	v_cmp_gt_u64_e32 vcc_lo, s[0:1], v[128:129]
	s_and_saveexec_b32 s0, vcc_lo
	s_cbranch_execz .LBB0_23
; %bb.1:
	v_mul_hi_u32 v2, 0xaaaaaaab, v128
	s_clause 0x1
	s_load_dwordx2 s[14:15], s[4:5], 0x0
	s_load_dwordx2 s[12:13], s[4:5], 0x38
	v_mul_lo_u16 v1, 0x41, v1
	v_sub_nc_u16 v0, v0, v1
	v_lshrrev_b32_e32 v2, 1, v2
	v_and_b32_e32 v221, 0xffff, v0
	v_lshl_add_u32 v2, v2, 1, v2
	v_cmp_gt_u16_e32 vcc_lo, 35, v0
	v_lshlrev_b32_e32 v222, 4, v221
	v_sub_nc_u32_e32 v1, v128, v2
	v_mul_u32_u24_e32 v224, 0x1c7, v1
	v_lshlrev_b32_e32 v223, 4, v224
	s_and_saveexec_b32 s1, vcc_lo
	s_cbranch_execz .LBB0_3
; %bb.2:
	s_load_dwordx2 s[6:7], s[4:5], 0x18
	s_waitcnt lgkmcnt(0)
	v_add_co_u32 v22, s0, s14, v222
	v_add_co_ci_u32_e64 v23, null, s15, 0, s0
	v_add_co_u32 v28, s0, 0x800, v22
	v_add_co_ci_u32_e64 v29, s0, 0, v23, s0
	v_add_co_u32 v40, s0, 0x1000, v22
	v_add_co_ci_u32_e64 v41, s0, 0, v23, s0
	;; [unrolled: 2-line block ×3, first 2 shown]
	s_load_dwordx4 s[8:11], s[6:7], 0x0
	s_clause 0x3
	global_load_dwordx4 v[0:3], v222, s[14:15]
	global_load_dwordx4 v[4:7], v222, s[14:15] offset:560
	global_load_dwordx4 v[8:11], v222, s[14:15] offset:1120
	;; [unrolled: 1-line block ×3, first 2 shown]
	s_waitcnt lgkmcnt(0)
	v_mad_u64_u32 v[24:25], null, s8, v221, 0
	v_mad_u64_u32 v[16:17], null, s10, v128, 0
	s_mul_i32 s6, s9, 0x230
	s_mul_hi_u32 s7, s8, 0x230
	s_add_i32 s7, s7, s6
	v_mov_b32_e32 v18, v25
	v_mad_u64_u32 v[19:20], null, s11, v128, v[17:18]
	v_mad_u64_u32 v[20:21], null, s9, v221, v[18:19]
	v_mov_b32_e32 v17, v19
	v_lshlrev_b64 v[26:27], 4, v[16:17]
	v_mov_b32_e32 v25, v20
	s_clause 0x1
	global_load_dwordx4 v[16:19], v[28:29], off offset:192
	global_load_dwordx4 v[20:23], v[28:29], off offset:752
	v_add_co_u32 v26, s0, s2, v26
	v_lshlrev_b64 v[24:25], 4, v[24:25]
	v_add_co_ci_u32_e64 v27, s0, s3, v27, s0
	s_mul_i32 s2, s8, 0x230
	v_add_co_u32 v44, s0, v26, v24
	v_add_co_ci_u32_e64 v45, s0, v27, v25, s0
	s_clause 0x1
	global_load_dwordx4 v[24:27], v[28:29], off offset:1312
	global_load_dwordx4 v[28:31], v[28:29], off offset:1872
	v_add_co_u32 v48, s0, v44, s2
	v_add_co_ci_u32_e64 v49, s0, s7, v45, s0
	s_clause 0x1
	global_load_dwordx4 v[32:35], v[40:41], off offset:384
	global_load_dwordx4 v[36:39], v[40:41], off offset:944
	v_add_co_u32 v52, s0, v48, s2
	v_add_co_ci_u32_e64 v53, s0, s7, v49, s0
	global_load_dwordx4 v[40:43], v[40:41], off offset:1504
	v_add_co_u32 v56, s0, v52, s2
	v_add_co_ci_u32_e64 v57, s0, s7, v53, s0
	s_clause 0x1
	global_load_dwordx4 v[44:47], v[44:45], off
	global_load_dwordx4 v[48:51], v[48:49], off
	v_add_co_u32 v60, s0, v56, s2
	v_add_co_ci_u32_e64 v61, s0, s7, v57, s0
	s_clause 0x1
	global_load_dwordx4 v[52:55], v[52:53], off
	global_load_dwordx4 v[56:59], v[56:57], off
	v_add_co_u32 v64, s0, v60, s2
	v_add_co_ci_u32_e64 v65, s0, s7, v61, s0
	global_load_dwordx4 v[60:63], v[60:61], off
	v_add_co_u32 v68, s0, v64, s2
	v_add_co_ci_u32_e64 v69, s0, s7, v65, s0
	;; [unrolled: 3-line block ×7, first 2 shown]
	v_add_co_u32 v100, s0, v88, s2
	v_add_co_ci_u32_e64 v101, s0, s7, v89, s0
	global_load_dwordx4 v[84:87], v[84:85], off
	global_load_dwordx4 v[88:91], v[88:89], off
	s_clause 0x1
	global_load_dwordx4 v[92:95], v[96:97], off offset:16
	global_load_dwordx4 v[96:99], v[96:97], off offset:576
	global_load_dwordx4 v[100:103], v[100:101], off
	s_waitcnt vmcnt(14)
	v_mul_f64 v[104:105], v[46:47], v[2:3]
	v_mul_f64 v[2:3], v[44:45], v[2:3]
	s_waitcnt vmcnt(13)
	v_mul_f64 v[106:107], v[50:51], v[6:7]
	v_mul_f64 v[6:7], v[48:49], v[6:7]
	s_waitcnt vmcnt(12)
	v_mul_f64 v[108:109], v[54:55], v[10:11]
	v_mul_f64 v[10:11], v[52:53], v[10:11]
	s_waitcnt vmcnt(11)
	v_mul_f64 v[110:111], v[58:59], v[14:15]
	v_mul_f64 v[14:15], v[56:57], v[14:15]
	s_waitcnt vmcnt(10)
	v_mul_f64 v[112:113], v[62:63], v[18:19]
	v_mul_f64 v[18:19], v[60:61], v[18:19]
	v_fma_f64 v[44:45], v[44:45], v[0:1], v[104:105]
	s_waitcnt vmcnt(9)
	v_mul_f64 v[104:105], v[66:67], v[22:23]
	v_mul_f64 v[22:23], v[64:65], v[22:23]
	v_fma_f64 v[46:47], v[46:47], v[0:1], -v[2:3]
	v_fma_f64 v[0:1], v[48:49], v[4:5], v[106:107]
	s_waitcnt vmcnt(8)
	v_mul_f64 v[48:49], v[70:71], v[26:27]
	v_mul_f64 v[26:27], v[68:69], v[26:27]
	v_fma_f64 v[2:3], v[50:51], v[4:5], -v[6:7]
	s_waitcnt vmcnt(7)
	v_mul_f64 v[50:51], v[74:75], v[30:31]
	v_mul_f64 v[30:31], v[72:73], v[30:31]
	s_waitcnt vmcnt(6)
	v_mul_f64 v[106:107], v[78:79], v[34:35]
	v_mul_f64 v[34:35], v[76:77], v[34:35]
	v_fma_f64 v[4:5], v[52:53], v[8:9], v[108:109]
	v_fma_f64 v[6:7], v[54:55], v[8:9], -v[10:11]
	s_waitcnt vmcnt(5)
	v_mul_f64 v[114:115], v[82:83], v[38:39]
	v_mul_f64 v[38:39], v[80:81], v[38:39]
	v_fma_f64 v[8:9], v[56:57], v[12:13], v[110:111]
	v_fma_f64 v[10:11], v[58:59], v[12:13], -v[14:15]
	v_fma_f64 v[12:13], v[60:61], v[16:17], v[112:113]
	v_fma_f64 v[14:15], v[62:63], v[16:17], -v[18:19]
	s_waitcnt vmcnt(4)
	v_mul_f64 v[116:117], v[86:87], v[42:43]
	v_mul_f64 v[42:43], v[84:85], v[42:43]
	s_waitcnt vmcnt(2)
	v_mul_f64 v[118:119], v[90:91], v[94:95]
	v_mul_f64 v[94:95], v[88:89], v[94:95]
	;; [unrolled: 3-line block ×3, first 2 shown]
	v_fma_f64 v[16:17], v[64:65], v[20:21], v[104:105]
	v_fma_f64 v[18:19], v[66:67], v[20:21], -v[22:23]
	v_fma_f64 v[20:21], v[68:69], v[24:25], v[48:49]
	v_fma_f64 v[22:23], v[70:71], v[24:25], -v[26:27]
	;; [unrolled: 2-line block ×4, first 2 shown]
	v_lshl_add_u32 v52, v221, 4, v223
	v_add_nc_u32_e32 v53, v223, v222
	v_fma_f64 v[32:33], v[80:81], v[36:37], v[114:115]
	v_fma_f64 v[34:35], v[82:83], v[36:37], -v[38:39]
	v_fma_f64 v[36:37], v[84:85], v[40:41], v[116:117]
	v_fma_f64 v[38:39], v[86:87], v[40:41], -v[42:43]
	;; [unrolled: 2-line block ×4, first 2 shown]
	ds_write_b128 v52, v[44:47]
	ds_write_b128 v53, v[0:3] offset:560
	ds_write_b128 v53, v[4:7] offset:1120
	;; [unrolled: 1-line block ×12, first 2 shown]
.LBB0_3:
	s_or_b32 exec_lo, exec_lo, s1
	s_waitcnt lgkmcnt(0)
	s_barrier
	buffer_gl0_inv
                                        ; implicit-def: $vgpr12_vgpr13
                                        ; implicit-def: $vgpr36_vgpr37
                                        ; implicit-def: $vgpr44_vgpr45
                                        ; implicit-def: $vgpr52_vgpr53
                                        ; implicit-def: $vgpr60_vgpr61
                                        ; implicit-def: $vgpr56_vgpr57
                                        ; implicit-def: $vgpr48_vgpr49
                                        ; implicit-def: $vgpr40_vgpr41
                                        ; implicit-def: $vgpr32_vgpr33
                                        ; implicit-def: $vgpr28_vgpr29
                                        ; implicit-def: $vgpr24_vgpr25
                                        ; implicit-def: $vgpr16_vgpr17
                                        ; implicit-def: $vgpr20_vgpr21
	s_and_saveexec_b32 s0, vcc_lo
	s_cbranch_execz .LBB0_5
; %bb.4:
	v_lshl_add_u32 v0, v224, 4, v222
	ds_read_b128 v[12:15], v0
	ds_read_b128 v[36:39], v0 offset:560
	ds_read_b128 v[44:47], v0 offset:1120
	;; [unrolled: 1-line block ×12, first 2 shown]
.LBB0_5:
	s_or_b32 exec_lo, exec_lo, s0
	s_waitcnt lgkmcnt(0)
	v_add_f64 v[76:77], v[38:39], -v[22:23]
	v_add_f64 v[78:79], v[36:37], -v[20:21]
	s_mov_b32 s3, 0xbfddbe06
	s_mov_b32 s2, 0x4267c47c
	v_add_f64 v[92:93], v[36:37], v[20:21]
	v_add_f64 v[82:83], v[46:47], -v[18:19]
	v_add_f64 v[94:95], v[38:39], v[22:23]
	v_add_f64 v[80:81], v[44:45], -v[16:17]
	s_mov_b32 s20, 0x42a4c3d2
	s_mov_b32 s6, 0xe00740e9
	;; [unrolled: 1-line block ×4, first 2 shown]
	v_add_f64 v[116:117], v[44:45], v[16:17]
	v_add_f64 v[118:119], v[46:47], v[18:19]
	v_add_f64 v[207:208], v[54:55], -v[26:27]
	v_add_f64 v[205:206], v[52:53], -v[24:25]
	s_mov_b32 s0, 0x1ea71119
	s_mov_b32 s22, 0x2ef20147
	s_mov_b32 s30, 0x66966769
	s_mov_b32 s1, 0x3fe22d96
	s_mov_b32 s23, 0xbfedeba7
	s_mov_b32 s31, 0xbfefc445
	v_mul_f64 v[84:85], v[76:77], s[2:3]
	v_mul_f64 v[86:87], v[78:79], s[2:3]
	;; [unrolled: 1-line block ×4, first 2 shown]
	v_add_f64 v[131:132], v[52:53], v[24:25]
	v_mul_f64 v[96:97], v[82:83], s[20:21]
	v_mul_f64 v[104:105], v[82:83], s[22:23]
	;; [unrolled: 1-line block ×4, first 2 shown]
	v_add_f64 v[133:134], v[54:55], v[26:27]
	v_add_f64 v[211:212], v[62:63], -v[30:31]
	v_add_f64 v[209:210], v[60:61], -v[28:29]
	s_mov_b32 s8, 0xebaa3ed8
	s_mov_b32 s18, 0xb2365da1
	v_mul_f64 v[100:101], v[207:208], s[30:31]
	v_mul_f64 v[102:103], v[205:206], s[30:31]
	s_mov_b32 s26, 0x4bc48dbf
	s_mov_b32 s9, 0x3fbedb7d
	;; [unrolled: 1-line block ×4, first 2 shown]
	v_add_f64 v[141:142], v[60:61], v[28:29]
	v_mul_f64 v[108:109], v[207:208], s[26:27]
	v_fma_f64 v[0:1], v[92:93], s[6:7], v[84:85]
	v_fma_f64 v[2:3], v[94:95], s[6:7], -v[86:87]
	v_fma_f64 v[4:5], v[92:93], s[0:1], v[88:89]
	v_fma_f64 v[6:7], v[94:95], s[0:1], -v[90:91]
	v_mul_f64 v[110:111], v[205:206], s[26:27]
	v_fma_f64 v[8:9], v[116:117], s[0:1], v[96:97]
	v_fma_f64 v[64:65], v[116:117], s[18:19], v[104:105]
	v_fma_f64 v[10:11], v[118:119], s[0:1], -v[98:99]
	v_fma_f64 v[66:67], v[118:119], s[18:19], -v[106:107]
	v_add_f64 v[143:144], v[62:63], v[30:31]
	v_add_f64 v[215:216], v[58:59], -v[34:35]
	v_add_f64 v[213:214], v[56:57], -v[32:33]
	v_mul_f64 v[112:113], v[211:212], s[22:23]
	v_mul_f64 v[114:115], v[209:210], s[22:23]
	v_fma_f64 v[68:69], v[131:132], s[8:9], v[100:101]
	v_fma_f64 v[70:71], v[133:134], s[8:9], -v[102:103]
	s_mov_b32 s24, 0x24c2f84
	s_mov_b32 s10, 0x93053d00
	;; [unrolled: 1-line block ×6, first 2 shown]
	v_add_f64 v[0:1], v[12:13], v[0:1]
	v_add_f64 v[2:3], v[14:15], v[2:3]
	v_add_f64 v[4:5], v[12:13], v[4:5]
	v_add_f64 v[6:7], v[14:15], v[6:7]
	v_mul_f64 v[120:121], v[211:212], s[34:35]
	v_mul_f64 v[122:123], v[209:210], s[34:35]
	v_add_f64 v[147:148], v[56:57], v[32:33]
	v_add_f64 v[149:150], v[58:59], v[34:35]
	v_add_f64 v[219:220], v[50:51], -v[42:43]
	s_mov_b32 s16, 0xd0032e0c
	v_mul_f64 v[124:125], v[215:216], s[24:25]
	v_mul_f64 v[126:127], v[213:214], s[24:25]
	s_mov_b32 s17, 0xbfe7f3cc
	s_mov_b32 s29, 0x3fefc445
	;; [unrolled: 1-line block ×3, first 2 shown]
	v_mul_f64 v[157:158], v[76:77], s[30:31]
	v_mul_f64 v[129:130], v[215:216], s[28:29]
	v_add_f64 v[151:152], v[48:49], v[40:41]
	v_mul_f64 v[165:166], v[78:79], s[30:31]
	s_mov_b32 s3, 0x3fddbe06
	v_mul_f64 v[159:160], v[82:83], s[26:27]
	v_mul_f64 v[177:178], v[80:81], s[26:27]
	v_add_f64 v[0:1], v[8:9], v[0:1]
	v_add_f64 v[2:3], v[10:11], v[2:3]
	v_fma_f64 v[8:9], v[131:132], s[10:11], v[108:109]
	v_add_f64 v[4:5], v[64:65], v[4:5]
	v_fma_f64 v[10:11], v[133:134], s[10:11], -v[110:111]
	v_add_f64 v[6:7], v[66:67], v[6:7]
	v_fma_f64 v[64:65], v[141:142], s[18:19], v[112:113]
	v_fma_f64 v[66:67], v[143:144], s[18:19], -v[114:115]
	v_mul_f64 v[137:138], v[219:220], s[26:27]
	v_mul_f64 v[145:146], v[219:220], s[2:3]
	s_mov_b32 s37, 0x3fedeba7
	s_mov_b32 s36, s22
	v_mul_f64 v[173:174], v[211:212], s[2:3]
	v_mul_f64 v[171:172], v[207:208], s[36:37]
	;; [unrolled: 1-line block ×6, first 2 shown]
	v_add_f64 v[217:218], v[48:49], -v[40:41]
	v_mul_f64 v[161:162], v[219:220], s[24:25]
	v_add_f64 v[153:154], v[50:51], v[42:43]
	v_mul_f64 v[187:188], v[76:77], s[22:23]
	v_add_f64 v[0:1], v[68:69], v[0:1]
	v_add_f64 v[2:3], v[70:71], v[2:3]
	v_fma_f64 v[68:69], v[141:142], s[16:17], v[120:121]
	v_add_f64 v[4:5], v[8:9], v[4:5]
	v_fma_f64 v[8:9], v[143:144], s[16:17], -v[122:123]
	v_add_f64 v[6:7], v[10:11], v[6:7]
	v_fma_f64 v[10:11], v[147:148], s[16:17], v[124:125]
	v_fma_f64 v[70:71], v[149:150], s[16:17], -v[126:127]
	v_mul_f64 v[135:136], v[213:214], s[28:29]
	v_mul_f64 v[181:182], v[82:83], s[34:35]
	;; [unrolled: 1-line block ×8, first 2 shown]
	s_mov_b32 s35, 0x3fcea1e5
	s_mov_b32 s34, s26
	v_mul_f64 v[163:164], v[217:218], s[24:25]
	v_mul_f64 v[155:156], v[217:218], s[2:3]
	;; [unrolled: 1-line block ×4, first 2 shown]
	v_add_f64 v[0:1], v[64:65], v[0:1]
	v_add_f64 v[2:3], v[66:67], v[2:3]
	v_fma_f64 v[64:65], v[147:148], s[8:9], v[129:130]
	v_fma_f64 v[66:67], v[92:93], s[8:9], v[157:158]
	v_add_f64 v[4:5], v[68:69], v[4:5]
	v_add_f64 v[6:7], v[8:9], v[6:7]
	v_fma_f64 v[8:9], v[151:152], s[10:11], v[137:138]
	s_mov_b32 s31, 0x3fea55e2
	v_fma_f64 v[68:69], v[149:150], s[8:9], -v[135:136]
	s_mov_b32 s30, s20
	v_mul_f64 v[139:140], v[217:218], s[26:27]
	v_mul_f64 v[183:184], v[219:220], s[30:31]
	;; [unrolled: 1-line block ×8, first 2 shown]
	v_add_f64 v[0:1], v[10:11], v[0:1]
	v_add_f64 v[2:3], v[70:71], v[2:3]
	v_fma_f64 v[70:71], v[94:95], s[8:9], -v[165:166]
	v_fma_f64 v[10:11], v[116:117], s[10:11], v[159:160]
	v_add_f64 v[66:67], v[12:13], v[66:67]
	v_add_f64 v[4:5], v[64:65], v[4:5]
	v_fma_f64 v[64:65], v[151:152], s[6:7], v[145:146]
	v_add_f64 v[6:7], v[68:69], v[6:7]
	v_fma_f64 v[68:69], v[153:154], s[6:7], -v[155:156]
	v_fma_f64 v[72:73], v[153:154], s[10:11], -v[139:140]
	v_fma_f64 v[229:230], v[118:119], s[8:9], v[227:228]
	v_add_f64 v[0:1], v[8:9], v[0:1]
	v_fma_f64 v[8:9], v[118:119], s[10:11], -v[177:178]
	v_add_f64 v[70:71], v[14:15], v[70:71]
	v_add_f64 v[10:11], v[10:11], v[66:67]
	v_fma_f64 v[66:67], v[131:132], s[18:19], v[171:172]
	v_add_f64 v[4:5], v[64:65], v[4:5]
	v_fma_f64 v[64:65], v[133:134], s[18:19], -v[179:180]
	v_add_f64 v[6:7], v[68:69], v[6:7]
	v_fma_f64 v[68:69], v[118:119], s[16:17], -v[201:202]
	v_add_f64 v[2:3], v[72:73], v[2:3]
	v_mul_f64 v[72:73], v[76:77], s[24:25]
	v_add_f64 v[8:9], v[8:9], v[70:71]
	v_add_f64 v[10:11], v[66:67], v[10:11]
	v_fma_f64 v[66:67], v[141:142], s[6:7], v[173:174]
	v_add_f64 v[8:9], v[64:65], v[8:9]
	v_fma_f64 v[64:65], v[143:144], s[6:7], -v[175:176]
	v_add_f64 v[10:11], v[66:67], v[10:11]
	v_fma_f64 v[66:67], v[116:117], s[16:17], v[181:182]
	v_add_f64 v[8:9], v[64:65], v[8:9]
	v_fma_f64 v[64:65], v[147:148], s[0:1], v[167:168]
	v_add_f64 v[10:11], v[64:65], v[10:11]
	v_fma_f64 v[64:65], v[149:150], s[0:1], -v[169:170]
	v_add_f64 v[64:65], v[64:65], v[8:9]
	v_fma_f64 v[8:9], v[151:152], s[16:17], v[161:162]
	v_add_f64 v[8:9], v[8:9], v[10:11]
	v_fma_f64 v[10:11], v[153:154], s[16:17], -v[163:164]
	v_add_f64 v[10:11], v[10:11], v[64:65]
	v_fma_f64 v[64:65], v[92:93], s[18:19], v[187:188]
	v_add_f64 v[64:65], v[12:13], v[64:65]
	v_add_f64 v[64:65], v[66:67], v[64:65]
	v_fma_f64 v[66:67], v[94:95], s[18:19], -v[193:194]
	v_add_f64 v[66:67], v[14:15], v[66:67]
	v_add_f64 v[66:67], v[68:69], v[66:67]
	v_fma_f64 v[68:69], v[131:132], s[6:7], v[199:200]
	v_add_f64 v[64:65], v[68:69], v[64:65]
	v_fma_f64 v[68:69], v[133:134], s[6:7], -v[203:204]
	v_add_f64 v[66:67], v[68:69], v[66:67]
	v_fma_f64 v[68:69], v[141:142], s[8:9], v[195:196]
	v_add_f64 v[64:65], v[68:69], v[64:65]
	v_fma_f64 v[68:69], v[143:144], s[8:9], -v[197:198]
	;; [unrolled: 4-line block ×4, first 2 shown]
	v_add_f64 v[70:71], v[64:65], v[66:67]
	v_fma_f64 v[64:65], v[92:93], s[16:17], -v[72:73]
	v_fma_f64 v[66:67], v[116:117], s[8:9], -v[74:75]
	v_fma_f64 v[72:73], v[92:93], s[16:17], v[72:73]
	v_fma_f64 v[74:75], v[116:117], s[8:9], v[74:75]
	v_add_f64 v[64:65], v[12:13], v[64:65]
	v_add_f64 v[72:73], v[12:13], v[72:73]
	;; [unrolled: 1-line block ×3, first 2 shown]
	v_fma_f64 v[66:67], v[94:95], s[16:17], v[225:226]
	v_add_f64 v[72:73], v[74:75], v[72:73]
	v_fma_f64 v[74:75], v[94:95], s[16:17], -v[225:226]
	v_fma_f64 v[225:226], v[118:119], s[8:9], -v[227:228]
	v_add_f64 v[66:67], v[14:15], v[66:67]
	v_add_f64 v[74:75], v[14:15], v[74:75]
	;; [unrolled: 1-line block ×3, first 2 shown]
	v_mul_f64 v[229:230], v[207:208], s[20:21]
	v_add_f64 v[74:75], v[225:226], v[74:75]
	v_mul_f64 v[207:208], v[207:208], s[24:25]
	v_fma_f64 v[231:232], v[131:132], s[0:1], -v[229:230]
	v_fma_f64 v[225:226], v[131:132], s[0:1], v[229:230]
	v_fma_f64 v[229:230], v[118:119], s[6:7], v[80:81]
	v_fma_f64 v[80:81], v[118:119], s[6:7], -v[80:81]
	v_add_f64 v[64:65], v[231:232], v[64:65]
	v_mul_f64 v[231:232], v[205:206], s[20:21]
	v_add_f64 v[72:73], v[225:226], v[72:73]
	v_mul_f64 v[205:206], v[205:206], s[24:25]
	v_fma_f64 v[233:234], v[133:134], s[0:1], v[231:232]
	v_fma_f64 v[225:226], v[133:134], s[0:1], -v[231:232]
	v_add_f64 v[66:67], v[233:234], v[66:67]
	v_mul_f64 v[233:234], v[211:212], s[34:35]
	v_add_f64 v[74:75], v[225:226], v[74:75]
	v_mul_f64 v[211:212], v[211:212], s[30:31]
	v_fma_f64 v[235:236], v[141:142], s[10:11], -v[233:234]
	v_fma_f64 v[225:226], v[141:142], s[10:11], v[233:234]
	v_add_f64 v[64:65], v[235:236], v[64:65]
	v_mul_f64 v[235:236], v[209:210], s[34:35]
	v_add_f64 v[72:73], v[225:226], v[72:73]
	v_mul_f64 v[209:210], v[209:210], s[30:31]
	v_fma_f64 v[237:238], v[143:144], s[10:11], v[235:236]
	v_fma_f64 v[225:226], v[143:144], s[10:11], -v[235:236]
	v_add_f64 v[66:67], v[237:238], v[66:67]
	v_mul_f64 v[237:238], v[215:216], s[2:3]
	v_add_f64 v[74:75], v[225:226], v[74:75]
	v_mul_f64 v[215:216], v[215:216], s[22:23]
	v_fma_f64 v[239:240], v[147:148], s[6:7], -v[237:238]
	v_fma_f64 v[225:226], v[147:148], s[6:7], v[237:238]
	v_add_f64 v[64:65], v[239:240], v[64:65]
	v_mul_f64 v[239:240], v[213:214], s[2:3]
	v_add_f64 v[72:73], v[225:226], v[72:73]
	v_mul_f64 v[213:214], v[213:214], s[22:23]
	s_clause 0x1
	s_load_dwordx2 s[20:21], s[4:5], 0x20
	s_load_dwordx2 s[2:3], s[4:5], 0x8
	s_waitcnt lgkmcnt(0)
	s_barrier
	buffer_gl0_inv
	v_fma_f64 v[241:242], v[149:150], s[6:7], v[239:240]
	v_fma_f64 v[225:226], v[149:150], s[6:7], -v[239:240]
	v_add_f64 v[66:67], v[241:242], v[66:67]
	v_mul_f64 v[241:242], v[219:220], s[22:23]
	v_add_f64 v[74:75], v[225:226], v[74:75]
	v_mul_f64 v[219:220], v[219:220], s[28:29]
	v_fma_f64 v[243:244], v[151:152], s[18:19], -v[241:242]
	v_fma_f64 v[225:226], v[151:152], s[18:19], v[241:242]
	v_add_f64 v[64:65], v[243:244], v[64:65]
	v_mul_f64 v[243:244], v[217:218], s[22:23]
	v_add_f64 v[72:73], v[225:226], v[72:73]
	v_mul_f64 v[225:226], v[76:77], s[26:27]
	v_mul_f64 v[217:218], v[217:218], s[28:29]
	v_fma_f64 v[227:228], v[153:154], s[18:19], -v[243:244]
	v_fma_f64 v[245:246], v[153:154], s[18:19], v[243:244]
	v_fma_f64 v[76:77], v[92:93], s[10:11], -v[225:226]
	v_fma_f64 v[225:226], v[92:93], s[10:11], v[225:226]
	v_add_f64 v[74:75], v[227:228], v[74:75]
	v_fma_f64 v[227:228], v[116:117], s[6:7], -v[82:83]
	v_add_f64 v[76:77], v[12:13], v[76:77]
	v_add_f64 v[225:226], v[12:13], v[225:226]
	v_fma_f64 v[82:83], v[116:117], s[6:7], v[82:83]
	v_add_f64 v[66:67], v[245:246], v[66:67]
	v_add_f64 v[76:77], v[227:228], v[76:77]
	v_mul_f64 v[227:228], v[78:79], s[26:27]
	v_add_f64 v[82:83], v[82:83], v[225:226]
	v_fma_f64 v[78:79], v[94:95], s[10:11], v[227:228]
	v_fma_f64 v[225:226], v[94:95], s[10:11], -v[227:228]
	v_add_f64 v[78:79], v[14:15], v[78:79]
	v_add_f64 v[225:226], v[14:15], v[225:226]
	;; [unrolled: 1-line block ×3, first 2 shown]
	v_fma_f64 v[229:230], v[131:132], s[16:17], -v[207:208]
	v_add_f64 v[80:81], v[80:81], v[225:226]
	v_fma_f64 v[207:208], v[131:132], s[16:17], v[207:208]
	v_add_f64 v[76:77], v[229:230], v[76:77]
	v_fma_f64 v[229:230], v[133:134], s[16:17], v[205:206]
	v_fma_f64 v[205:206], v[133:134], s[16:17], -v[205:206]
	v_add_f64 v[82:83], v[207:208], v[82:83]
	v_fma_f64 v[207:208], v[153:154], s[8:9], -v[217:218]
	v_add_f64 v[78:79], v[229:230], v[78:79]
	;; [unrolled: 2-line block ×3, first 2 shown]
	v_fma_f64 v[205:206], v[141:142], s[0:1], v[211:212]
	v_add_f64 v[76:77], v[229:230], v[76:77]
	v_fma_f64 v[229:230], v[143:144], s[0:1], v[209:210]
	v_add_f64 v[82:83], v[205:206], v[82:83]
	v_fma_f64 v[205:206], v[143:144], s[0:1], -v[209:210]
	v_add_f64 v[78:79], v[229:230], v[78:79]
	v_fma_f64 v[229:230], v[147:148], s[18:19], -v[215:216]
	v_add_f64 v[80:81], v[205:206], v[80:81]
	v_fma_f64 v[205:206], v[147:148], s[18:19], v[215:216]
	v_add_f64 v[76:77], v[229:230], v[76:77]
	v_fma_f64 v[229:230], v[149:150], s[18:19], v[213:214]
	v_add_f64 v[82:83], v[205:206], v[82:83]
	v_fma_f64 v[205:206], v[149:150], s[18:19], -v[213:214]
	v_add_f64 v[78:79], v[229:230], v[78:79]
	v_fma_f64 v[229:230], v[151:152], s[8:9], -v[219:220]
	v_add_f64 v[205:206], v[205:206], v[80:81]
	v_fma_f64 v[80:81], v[151:152], s[8:9], v[219:220]
	v_add_f64 v[76:77], v[229:230], v[76:77]
	v_fma_f64 v[229:230], v[153:154], s[8:9], v[217:218]
	v_add_f64 v[80:81], v[80:81], v[82:83]
	v_add_f64 v[82:83], v[207:208], v[205:206]
	v_mul_lo_u16 v205, v221, 13
	v_add_f64 v[78:79], v[229:230], v[78:79]
	s_and_saveexec_b32 s4, vcc_lo
	s_cbranch_execz .LBB0_7
; %bb.6:
	v_add_f64 v[38:39], v[14:15], v[38:39]
	v_add_f64 v[36:37], v[12:13], v[36:37]
	v_mul_f64 v[206:207], v[116:117], s[0:1]
	v_mul_f64 v[208:209], v[118:119], s[0:1]
	v_mul_f64 v[210:211], v[116:117], s[18:19]
	v_mul_f64 v[212:213], v[118:119], s[18:19]
	v_mul_f64 v[214:215], v[116:117], s[10:11]
	v_mul_f64 v[216:217], v[118:119], s[10:11]
	v_mul_f64 v[116:117], v[116:117], s[16:17]
	v_mul_f64 v[118:119], v[118:119], s[16:17]
	v_mul_f64 v[218:219], v[131:132], s[8:9]
	v_mul_f64 v[225:226], v[133:134], s[8:9]
	v_mul_f64 v[227:228], v[131:132], s[10:11]
	v_mul_f64 v[229:230], v[133:134], s[10:11]
	v_mul_f64 v[231:232], v[141:142], s[18:19]
	v_mul_f64 v[233:234], v[143:144], s[18:19]
	v_mul_f64 v[235:236], v[141:142], s[16:17]
	v_mul_f64 v[237:238], v[143:144], s[16:17]
	v_mul_f64 v[239:240], v[141:142], s[6:7]
	v_mul_f64 v[241:242], v[143:144], s[6:7]
	v_mul_f64 v[141:142], v[141:142], s[8:9]
	v_mul_f64 v[143:144], v[143:144], s[8:9]
	v_add_f64 v[38:39], v[38:39], v[46:47]
	v_add_f64 v[36:37], v[36:37], v[44:45]
	v_mul_f64 v[44:45], v[92:93], s[6:7]
	v_mul_f64 v[46:47], v[94:95], s[6:7]
	v_add_f64 v[98:99], v[98:99], v[208:209]
	v_add_f64 v[96:97], v[206:207], -v[96:97]
	v_add_f64 v[106:107], v[106:107], v[212:213]
	v_add_f64 v[104:105], v[210:211], -v[104:105]
	v_add_f64 v[100:101], v[218:219], -v[100:101]
	v_add_f64 v[102:103], v[102:103], v[225:226]
	v_add_f64 v[108:109], v[227:228], -v[108:109]
	v_add_f64 v[110:111], v[110:111], v[229:230]
	;; [unrolled: 2-line block ×3, first 2 shown]
	v_add_f64 v[38:39], v[38:39], v[54:55]
	v_add_f64 v[36:37], v[36:37], v[52:53]
	v_mul_f64 v[52:53], v[92:93], s[0:1]
	v_mul_f64 v[54:55], v[94:95], s[0:1]
	v_add_f64 v[46:47], v[86:87], v[46:47]
	v_add_f64 v[44:45], v[44:45], -v[84:85]
	v_mul_f64 v[84:85], v[147:148], s[8:9]
	v_mul_f64 v[86:87], v[149:150], s[8:9]
	v_add_f64 v[38:39], v[38:39], v[62:63]
	v_add_f64 v[36:37], v[36:37], v[60:61]
	v_mul_f64 v[60:61], v[92:93], s[8:9]
	v_mul_f64 v[62:63], v[94:95], s[8:9]
	v_mul_f64 v[92:93], v[92:93], s[18:19]
	v_mul_f64 v[94:95], v[94:95], s[18:19]
	v_add_f64 v[54:55], v[90:91], v[54:55]
	v_add_f64 v[52:53], v[52:53], -v[88:89]
	v_add_f64 v[88:89], v[201:202], v[118:119]
	v_add_f64 v[90:91], v[116:117], -v[181:182]
	v_add_f64 v[44:45], v[12:13], v[44:45]
	v_add_f64 v[116:117], v[177:178], v[216:217]
	v_add_f64 v[118:119], v[214:215], -v[159:160]
	v_add_f64 v[86:87], v[135:136], v[86:87]
	v_add_f64 v[84:85], v[84:85], -v[129:130]
	v_add_f64 v[38:39], v[38:39], v[58:59]
	;; [unrolled: 5-line block ×3, first 2 shown]
	v_mul_f64 v[56:57], v[131:132], s[18:19]
	v_mul_f64 v[58:59], v[133:134], s[18:19]
	v_mul_f64 v[131:132], v[131:132], s[6:7]
	v_mul_f64 v[133:134], v[133:134], s[6:7]
	v_add_f64 v[54:55], v[14:15], v[54:55]
	v_add_f64 v[44:45], v[96:97], v[44:45]
	;; [unrolled: 1-line block ×5, first 2 shown]
	v_mul_f64 v[48:49], v[147:148], s[16:17]
	v_add_f64 v[62:63], v[14:15], v[62:63]
	v_add_f64 v[92:93], v[12:13], v[92:93]
	;; [unrolled: 1-line block ×7, first 2 shown]
	v_add_f64 v[131:132], v[131:132], -v[199:200]
	v_add_f64 v[54:55], v[106:107], v[54:55]
	v_add_f64 v[58:59], v[179:180], v[58:59]
	v_add_f64 v[56:57], v[56:57], -v[171:172]
	v_mul_f64 v[50:51], v[149:150], s[16:17]
	v_mul_f64 v[52:53], v[147:148], s[10:11]
	v_mul_f64 v[60:61], v[149:150], s[10:11]
	v_add_f64 v[44:45], v[100:101], v[44:45]
	v_add_f64 v[106:107], v[239:240], -v[173:174]
	v_add_f64 v[38:39], v[38:39], v[42:43]
	v_add_f64 v[36:37], v[36:37], v[40:41]
	v_mul_f64 v[40:41], v[147:148], s[0:1]
	v_add_f64 v[62:63], v[116:117], v[62:63]
	v_add_f64 v[90:91], v[90:91], v[92:93]
	;; [unrolled: 1-line block ×6, first 2 shown]
	v_add_f64 v[98:99], v[141:142], -v[195:196]
	v_add_f64 v[116:117], v[122:123], v[237:238]
	v_add_f64 v[118:119], v[235:236], -v[120:121]
	v_add_f64 v[54:55], v[110:111], v[54:55]
	v_mul_f64 v[42:43], v[149:150], s[0:1]
	v_add_f64 v[104:105], v[175:176], v[241:242]
	v_add_f64 v[52:53], v[52:53], -v[189:190]
	v_add_f64 v[60:61], v[191:192], v[60:61]
	v_add_f64 v[50:51], v[126:127], v[50:51]
	v_add_f64 v[48:49], v[48:49], -v[124:125]
	v_add_f64 v[44:45], v[112:113], v[44:45]
	v_mul_f64 v[92:93], v[151:152], s[6:7]
	v_mul_f64 v[94:95], v[153:154], s[6:7]
	v_add_f64 v[34:35], v[38:39], v[34:35]
	v_add_f64 v[32:33], v[36:37], v[32:33]
	v_mul_f64 v[36:37], v[151:152], s[10:11]
	v_add_f64 v[58:59], v[58:59], v[62:63]
	v_add_f64 v[90:91], v[131:132], v[90:91]
	;; [unrolled: 1-line block ×6, first 2 shown]
	v_mul_f64 v[38:39], v[153:154], s[10:11]
	v_mul_f64 v[56:57], v[151:152], s[0:1]
	;; [unrolled: 1-line block ×3, first 2 shown]
	v_add_f64 v[54:55], v[116:117], v[54:55]
	v_add_f64 v[42:43], v[169:170], v[42:43]
	v_add_f64 v[40:41], v[40:41], -v[167:168]
	v_add_f64 v[44:45], v[48:49], v[44:45]
	v_add_f64 v[30:31], v[34:35], v[30:31]
	;; [unrolled: 1-line block ×3, first 2 shown]
	v_mul_f64 v[32:33], v[151:152], s[16:17]
	v_mul_f64 v[34:35], v[153:154], s[16:17]
	v_add_f64 v[90:91], v[98:99], v[90:91]
	v_add_f64 v[88:89], v[96:97], v[88:89]
	;; [unrolled: 1-line block ×7, first 2 shown]
	v_add_f64 v[36:37], v[36:37], -v[137:138]
	v_add_f64 v[54:55], v[86:87], v[54:55]
	v_add_f64 v[26:27], v[30:31], v[26:27]
	;; [unrolled: 1-line block ×4, first 2 shown]
	v_add_f64 v[30:31], v[56:57], -v[183:184]
	v_add_f64 v[52:53], v[52:53], v[90:91]
	v_add_f64 v[60:61], v[60:61], v[88:89]
	;; [unrolled: 1-line block ×4, first 2 shown]
	v_add_f64 v[62:63], v[92:93], -v[145:146]
	v_add_f64 v[46:47], v[84:85], v[46:47]
	v_add_f64 v[34:35], v[163:164], v[34:35]
	v_add_f64 v[32:33], v[32:33], -v[161:162]
	v_add_f64 v[42:43], v[42:43], v[58:59]
	v_add_f64 v[40:41], v[40:41], v[12:13]
	;; [unrolled: 1-line block ×12, first 2 shown]
	v_and_b32_e32 v32, 0xffff, v205
	v_add_lshl_u32 v32, v224, v32, 4
	v_add_f64 v[22:23], v[48:49], v[22:23]
	v_add_f64 v[20:21], v[58:59], v[20:21]
	ds_write_b128 v32, v[64:67] offset:80
	ds_write_b128 v32, v[76:79] offset:96
	;; [unrolled: 1-line block ×11, first 2 shown]
	ds_write_b128 v32, v[20:23]
	ds_write_b128 v32, v[0:3] offset:192
.LBB0_7:
	s_or_b32 exec_lo, exec_lo, s4
	v_add_lshl_u32 v201, v224, v221, 4
	s_waitcnt lgkmcnt(0)
	s_barrier
	buffer_gl0_inv
	v_cmp_gt_u16_e64 s0, 26, v221
	ds_read_b128 v[44:47], v201
	ds_read_b128 v[60:63], v201 offset:1456
	ds_read_b128 v[56:59], v201 offset:2912
	;; [unrolled: 1-line block ×4, first 2 shown]
	s_and_saveexec_b32 s1, s0
	s_cbranch_execz .LBB0_9
; %bb.8:
	ds_read_b128 v[64:67], v201 offset:1040
	ds_read_b128 v[76:79], v201 offset:2496
	;; [unrolled: 1-line block ×5, first 2 shown]
.LBB0_9:
	s_or_b32 exec_lo, exec_lo, s1
	v_and_b32_e32 v12, 0xff, v221
	v_add_nc_u16 v13, v221, 0x41
	v_mov_b32_e32 v15, 6
	s_mov_b32 s8, 0x134454ff
	s_mov_b32 s9, 0x3fee6f0e
	v_mul_lo_u16 v12, 0x4f, v12
	v_and_b32_e32 v14, 0xff, v13
	s_mov_b32 s7, 0xbfee6f0e
	s_mov_b32 s6, s8
	;; [unrolled: 1-line block ×3, first 2 shown]
	v_lshrrev_b16 v157, 10, v12
	v_mul_lo_u16 v12, 0x4f, v14
	s_mov_b32 s11, 0x3fe2cf23
	s_mov_b32 s5, 0xbfe2cf23
	;; [unrolled: 1-line block ×3, first 2 shown]
	v_mul_lo_u16 v14, v157, 13
	v_lshrrev_b16 v203, 10, v12
	s_mov_b32 s16, 0x372fe950
	s_mov_b32 s17, 0x3fd3c6ef
	v_sub_nc_u16 v158, v221, v14
	v_mul_lo_u16 v12, v203, 13
	v_lshlrev_b32_sdwa v14, v15, v158 dst_sel:DWORD dst_unused:UNUSED_PAD src0_sel:DWORD src1_sel:BYTE_0
	v_sub_nc_u16 v204, v13, v12
	s_clause 0x2
	global_load_dwordx4 v[40:43], v14, s[2:3]
	global_load_dwordx4 v[32:35], v14, s[2:3] offset:16
	global_load_dwordx4 v[28:31], v14, s[2:3] offset:32
	v_lshlrev_b32_sdwa v16, v15, v204 dst_sel:DWORD dst_unused:UNUSED_PAD src0_sel:DWORD src1_sel:BYTE_0
	s_clause 0x4
	global_load_dwordx4 v[36:39], v14, s[2:3] offset:48
	global_load_dwordx4 v[12:15], v16, s[2:3]
	global_load_dwordx4 v[24:27], v16, s[2:3] offset:16
	global_load_dwordx4 v[20:23], v16, s[2:3] offset:32
	;; [unrolled: 1-line block ×3, first 2 shown]
	s_waitcnt vmcnt(7) lgkmcnt(3)
	v_mul_f64 v[84:85], v[62:63], v[42:43]
	v_mul_f64 v[86:87], v[60:61], v[42:43]
	s_waitcnt vmcnt(6) lgkmcnt(2)
	v_mul_f64 v[88:89], v[58:59], v[34:35]
	v_mul_f64 v[90:91], v[56:57], v[34:35]
	s_waitcnt vmcnt(5) lgkmcnt(1)
	v_mul_f64 v[92:93], v[50:51], v[30:31]
	s_waitcnt vmcnt(4) lgkmcnt(0)
	v_mul_f64 v[94:95], v[52:53], v[38:39]
	v_mul_f64 v[96:97], v[48:49], v[30:31]
	;; [unrolled: 1-line block ×3, first 2 shown]
	s_waitcnt vmcnt(3)
	v_mul_f64 v[100:101], v[78:79], v[14:15]
	v_mul_f64 v[102:103], v[76:77], v[14:15]
	s_waitcnt vmcnt(2)
	v_mul_f64 v[104:105], v[82:83], v[26:27]
	v_mul_f64 v[106:107], v[80:81], v[26:27]
	s_waitcnt vmcnt(1)
	v_mul_f64 v[108:109], v[74:75], v[22:23]
	s_waitcnt vmcnt(0)
	v_mul_f64 v[110:111], v[70:71], v[18:19]
	v_mul_f64 v[112:113], v[72:73], v[22:23]
	;; [unrolled: 1-line block ×3, first 2 shown]
	v_fma_f64 v[84:85], v[60:61], v[40:41], -v[84:85]
	v_fma_f64 v[86:87], v[62:63], v[40:41], v[86:87]
	v_fma_f64 v[88:89], v[56:57], v[32:33], -v[88:89]
	v_fma_f64 v[90:91], v[58:59], v[32:33], v[90:91]
	;; [unrolled: 2-line block ×3, first 2 shown]
	v_fma_f64 v[94:95], v[50:51], v[28:29], v[96:97]
	v_fma_f64 v[96:97], v[52:53], v[36:37], -v[98:99]
	v_fma_f64 v[60:61], v[76:77], v[12:13], -v[100:101]
	v_fma_f64 v[62:63], v[78:79], v[12:13], v[102:103]
	v_fma_f64 v[56:57], v[80:81], v[24:25], -v[104:105]
	v_fma_f64 v[58:59], v[82:83], v[24:25], v[106:107]
	v_fma_f64 v[50:51], v[72:73], v[20:21], -v[108:109]
	v_fma_f64 v[48:49], v[68:69], v[16:17], -v[110:111]
	v_fma_f64 v[54:55], v[74:75], v[20:21], v[112:113]
	v_fma_f64 v[52:53], v[70:71], v[16:17], v[114:115]
	v_add_f64 v[68:69], v[44:45], v[84:85]
	v_add_f64 v[118:119], v[46:47], v[86:87]
	v_add_f64 v[78:79], v[84:85], -v[88:89]
	v_add_f64 v[104:105], v[88:89], -v[84:85]
	v_add_f64 v[70:71], v[88:89], v[92:93]
	v_add_f64 v[102:103], v[86:87], v[116:117]
	;; [unrolled: 1-line block ×4, first 2 shown]
	v_add_f64 v[72:73], v[86:87], -v[116:117]
	v_add_f64 v[74:75], v[90:91], -v[94:95]
	;; [unrolled: 1-line block ×4, first 2 shown]
	v_add_f64 v[106:107], v[56:57], v[50:51]
	v_add_f64 v[108:109], v[60:61], v[48:49]
	;; [unrolled: 1-line block ×4, first 2 shown]
	v_add_f64 v[120:121], v[84:85], -v[96:97]
	v_add_f64 v[124:125], v[86:87], -v[90:91]
	;; [unrolled: 1-line block ×10, first 2 shown]
	v_fma_f64 v[70:71], v[70:71], -0.5, v[44:45]
	v_fma_f64 v[102:103], v[102:103], -0.5, v[46:47]
	v_fma_f64 v[98:99], v[98:99], -0.5, v[46:47]
	v_fma_f64 v[76:77], v[76:77], -0.5, v[44:45]
	v_add_f64 v[133:134], v[60:61], -v[56:57]
	v_add_f64 v[135:136], v[48:49], -v[50:51]
	;; [unrolled: 1-line block ×4, first 2 shown]
	v_fma_f64 v[44:45], v[106:107], -0.5, v[64:65]
	v_fma_f64 v[106:107], v[108:109], -0.5, v[64:65]
	v_fma_f64 v[46:47], v[112:113], -0.5, v[66:67]
	v_fma_f64 v[108:109], v[114:115], -0.5, v[66:67]
	v_add_f64 v[112:113], v[50:51], -v[48:49]
	v_add_f64 v[114:115], v[62:63], -v[58:59]
	;; [unrolled: 1-line block ×4, first 2 shown]
	v_add_f64 v[68:69], v[68:69], v[88:89]
	v_add_f64 v[78:79], v[78:79], v[100:101]
	v_add_f64 v[110:111], v[104:105], v[110:111]
	v_add_f64 v[100:101], v[118:119], v[90:91]
	v_add_f64 v[124:125], v[124:125], v[126:127]
	v_add_f64 v[126:127], v[129:130], v[131:132]
	v_fma_f64 v[104:105], v[72:73], s[8:9], v[70:71]
	v_fma_f64 v[70:71], v[72:73], s[6:7], v[70:71]
	;; [unrolled: 1-line block ×14, first 2 shown]
	v_add_f64 v[88:89], v[133:134], v[135:136]
	v_add_f64 v[129:130], v[137:138], v[112:113]
	;; [unrolled: 1-line block ×6, first 2 shown]
	v_mov_b32_e32 v92, 0x41
	v_fma_f64 v[104:105], v[74:75], s[10:11], v[104:105]
	v_fma_f64 v[70:71], v[74:75], s[4:5], v[70:71]
	;; [unrolled: 1-line block ×14, first 2 shown]
	s_load_dwordx4 s[4:7], s[20:21], 0x0
	s_waitcnt lgkmcnt(0)
	s_barrier
	v_add_f64 v[93:94], v[68:69], v[96:97]
	v_add_f64 v[95:96], v[100:101], v[116:117]
	buffer_gl0_inv
	v_fma_f64 v[97:98], v[78:79], s[16:17], v[104:105]
	v_fma_f64 v[101:102], v[78:79], s[16:17], v[70:71]
	v_fma_f64 v[105:106], v[110:111], s[16:17], v[74:75]
	v_fma_f64 v[109:110], v[110:111], s[16:17], v[72:73]
	v_fma_f64 v[99:100], v[124:125], s[16:17], v[76:77]
	v_fma_f64 v[103:104], v[124:125], s[16:17], v[118:119]
	v_fma_f64 v[107:108], v[126:127], s[16:17], v[122:123]
	v_fma_f64 v[68:69], v[88:89], s[16:17], v[131:132]
	v_fma_f64 v[76:77], v[129:130], s[16:17], v[133:134]
	v_fma_f64 v[72:73], v[129:130], s[16:17], v[135:136]
	v_fma_f64 v[70:71], v[90:91], s[16:17], v[137:138]
	v_fma_f64 v[78:79], v[113:114], s[16:17], v[139:140]
	v_fma_f64 v[74:75], v[113:114], s[16:17], v[141:142]
	v_fma_f64 v[111:112], v[126:127], s[16:17], v[120:121]
	v_mul_u32_u24_sdwa v113, v157, v92 dst_sel:DWORD dst_unused:UNUSED_PAD src0_sel:WORD_0 src1_sel:DWORD
	v_add_nc_u32_sdwa v113, v113, v158 dst_sel:DWORD dst_unused:UNUSED_PAD src0_sel:DWORD src1_sel:BYTE_0
	v_add_lshl_u32 v206, v224, v113, 4
	ds_write_b128 v206, v[93:96]
	ds_write_b128 v206, v[97:100] offset:208
	ds_write_b128 v206, v[105:108] offset:416
	;; [unrolled: 1-line block ×4, first 2 shown]
	s_and_saveexec_b32 s1, s0
	s_cbranch_execz .LBB0_11
; %bb.10:
	v_add_f64 v[62:63], v[66:67], v[62:63]
	v_add_f64 v[60:61], v[64:65], v[60:61]
	v_mul_f64 v[86:87], v[86:87], s[8:9]
	v_mul_f64 v[64:65], v[80:81], s[8:9]
	;; [unrolled: 1-line block ×4, first 2 shown]
	v_add_f64 v[58:59], v[62:63], v[58:59]
	v_add_f64 v[56:57], v[60:61], v[56:57]
	v_add_f64 v[46:47], v[46:47], -v[86:87]
	v_add_f64 v[44:45], v[44:45], v[64:65]
	v_mul_f64 v[60:61], v[88:89], s[16:17]
	v_mul_f64 v[62:63], v[90:91], s[16:17]
	v_add_f64 v[54:55], v[58:59], v[54:55]
	v_add_f64 v[56:57], v[56:57], v[50:51]
	v_add_f64 v[46:47], v[46:47], -v[80:81]
	v_add_f64 v[44:45], v[66:67], v[44:45]
	v_add_f64 v[50:51], v[54:55], v[52:53]
	;; [unrolled: 1-line block ×5, first 2 shown]
	v_mul_u32_u24_sdwa v52, v203, v92 dst_sel:DWORD dst_unused:UNUSED_PAD src0_sel:WORD_0 src1_sel:DWORD
	v_add_nc_u32_sdwa v52, v52, v204 dst_sel:DWORD dst_unused:UNUSED_PAD src0_sel:DWORD src1_sel:BYTE_0
	v_add_lshl_u32 v52, v224, v52, 4
	ds_write_b128 v52, v[76:79] offset:416
	ds_write_b128 v52, v[72:75] offset:624
	ds_write_b128 v52, v[48:51]
	ds_write_b128 v52, v[44:47] offset:208
	ds_write_b128 v52, v[68:71] offset:832
.LBB0_11:
	s_or_b32 exec_lo, exec_lo, s1
	v_mad_u64_u32 v[56:57], null, 0x60, v221, s[2:3]
	s_waitcnt lgkmcnt(0)
	s_barrier
	buffer_gl0_inv
	s_mov_b32 s2, 0x37e14327
	s_mov_b32 s3, 0x3fe948f6
	;; [unrolled: 1-line block ×3, first 2 shown]
	s_clause 0x5
	global_load_dwordx4 v[48:51], v[56:57], off offset:832
	global_load_dwordx4 v[44:47], v[56:57], off offset:848
	;; [unrolled: 1-line block ×6, first 2 shown]
	ds_read_b128 v[80:83], v201 offset:1040
	ds_read_b128 v[84:87], v201 offset:2080
	;; [unrolled: 1-line block ×6, first 2 shown]
	s_mov_b32 s10, 0xe976ee23
	s_mov_b32 s9, 0x3fac98ee
	;; [unrolled: 1-line block ×7, first 2 shown]
	v_lshl_add_u32 v202, v221, 4, v223
	s_waitcnt vmcnt(5) lgkmcnt(5)
	v_mul_f64 v[104:105], v[82:83], v[50:51]
	v_mul_f64 v[106:107], v[80:81], v[50:51]
	s_waitcnt vmcnt(4) lgkmcnt(4)
	v_mul_f64 v[108:109], v[86:87], v[46:47]
	v_mul_f64 v[110:111], v[84:85], v[46:47]
	;; [unrolled: 3-line block ×6, first 2 shown]
	v_fma_f64 v[80:81], v[80:81], v[48:49], -v[104:105]
	v_fma_f64 v[82:83], v[82:83], v[48:49], v[106:107]
	v_fma_f64 v[84:85], v[84:85], v[44:45], -v[108:109]
	v_fma_f64 v[86:87], v[86:87], v[44:45], v[110:111]
	;; [unrolled: 2-line block ×6, first 2 shown]
	v_add_f64 v[104:105], v[80:81], v[88:89]
	v_add_f64 v[106:107], v[82:83], v[90:91]
	;; [unrolled: 1-line block ×4, first 2 shown]
	v_add_f64 v[84:85], v[84:85], -v[92:93]
	v_add_f64 v[86:87], v[86:87], -v[94:95]
	v_add_f64 v[112:113], v[96:97], v[100:101]
	v_add_f64 v[114:115], v[98:99], v[102:103]
	v_add_f64 v[92:93], v[100:101], -v[96:97]
	v_add_f64 v[94:95], v[102:103], -v[98:99]
	;; [unrolled: 1-line block ×4, first 2 shown]
	ds_read_b128 v[80:83], v201
	v_add_f64 v[96:97], v[108:109], v[104:105]
	v_add_f64 v[98:99], v[110:111], v[106:107]
	v_add_f64 v[100:101], v[104:105], -v[112:113]
	v_add_f64 v[102:103], v[106:107], -v[114:115]
	;; [unrolled: 1-line block ×10, first 2 shown]
	v_add_f64 v[84:85], v[92:93], v[84:85]
	v_add_f64 v[86:87], v[94:95], v[86:87]
	v_add_f64 v[92:93], v[88:89], -v[92:93]
	v_add_f64 v[94:95], v[90:91], -v[94:95]
	v_add_f64 v[96:97], v[112:113], v[96:97]
	v_add_f64 v[98:99], v[114:115], v[98:99]
	v_mul_f64 v[100:101], v[100:101], s[2:3]
	v_mul_f64 v[102:103], v[102:103], s[2:3]
	s_mov_b32 s2, 0x429ad128
	v_mul_f64 v[108:109], v[116:117], s[8:9]
	v_mul_f64 v[110:111], v[118:119], s[8:9]
	;; [unrolled: 1-line block ×4, first 2 shown]
	s_mov_b32 s3, 0x3febfeb5
	s_mov_b32 s10, 0xaaaaaaaa
	v_mul_f64 v[120:121], v[124:125], s[2:3]
	v_mul_f64 v[122:123], v[126:127], s[2:3]
	s_mov_b32 s11, 0xbff2aaaa
	v_add_f64 v[84:85], v[84:85], v[88:89]
	v_add_f64 v[86:87], v[86:87], v[90:91]
	s_waitcnt lgkmcnt(0)
	v_add_f64 v[80:81], v[80:81], v[96:97]
	v_add_f64 v[82:83], v[82:83], v[98:99]
	v_fma_f64 v[88:89], v[116:117], s[8:9], v[100:101]
	v_fma_f64 v[90:91], v[118:119], s[8:9], v[102:103]
	v_fma_f64 v[108:109], v[104:105], s[16:17], -v[108:109]
	v_fma_f64 v[110:111], v[106:107], s[16:17], -v[110:111]
	s_mov_b32 s17, 0xbfe77f67
	v_fma_f64 v[116:117], v[92:93], s[18:19], v[112:113]
	v_fma_f64 v[118:119], v[94:95], s[18:19], v[114:115]
	s_mov_b32 s19, 0xbfd5d0dc
	v_fma_f64 v[112:113], v[124:125], s[2:3], -v[112:113]
	v_fma_f64 v[114:115], v[126:127], s[2:3], -v[114:115]
	;; [unrolled: 1-line block ×6, first 2 shown]
	s_mov_b32 s2, 0x37c3f68c
	s_mov_b32 s3, 0x3fdc38aa
	v_fma_f64 v[96:97], v[96:97], s[10:11], v[80:81]
	v_fma_f64 v[98:99], v[98:99], s[10:11], v[82:83]
	;; [unrolled: 1-line block ×8, first 2 shown]
	v_add_f64 v[120:121], v[88:89], v[96:97]
	v_add_f64 v[122:123], v[90:91], v[98:99]
	v_add_f64 v[88:89], v[100:101], v[96:97]
	v_add_f64 v[90:91], v[102:103], v[98:99]
	v_add_f64 v[92:93], v[108:109], v[96:97]
	v_add_f64 v[94:95], v[110:111], v[98:99]
	v_add_f64 v[104:105], v[118:119], v[120:121]
	v_add_f64 v[106:107], v[122:123], -v[116:117]
	v_add_f64 v[100:101], v[86:87], v[88:89]
	v_add_f64 v[102:103], v[90:91], -v[84:85]
	v_add_f64 v[96:97], v[92:93], -v[114:115]
	v_add_f64 v[98:99], v[112:113], v[94:95]
	v_add_f64 v[92:93], v[114:115], v[92:93]
	v_add_f64 v[94:95], v[94:95], -v[112:113]
	v_add_f64 v[88:89], v[88:89], -v[86:87]
	v_add_f64 v[90:91], v[84:85], v[90:91]
	v_add_f64 v[84:85], v[120:121], -v[118:119]
	v_add_f64 v[86:87], v[116:117], v[122:123]
	ds_write_b128 v202, v[80:83]
	ds_write_b128 v202, v[104:107] offset:1040
	ds_write_b128 v202, v[100:103] offset:2080
	;; [unrolled: 1-line block ×6, first 2 shown]
	s_waitcnt lgkmcnt(0)
	s_barrier
	buffer_gl0_inv
	s_and_saveexec_b32 s2, vcc_lo
	s_cbranch_execz .LBB0_13
; %bb.12:
	v_add_co_u32 v137, s1, s14, v222
	v_add_co_ci_u32_e64 v138, null, s15, 0, s1
	v_add_co_u32 v108, s1, 0x1800, v137
	v_add_co_ci_u32_e64 v109, s1, 0, v138, s1
	v_add_co_u32 v120, s1, 0x1c70, v137
	v_add_co_ci_u32_e64 v121, s1, 0, v138, s1
	;; [unrolled: 2-line block ×3, first 2 shown]
	s_clause 0x2
	global_load_dwordx4 v[108:111], v[108:109], off offset:1136
	global_load_dwordx4 v[112:115], v[120:121], off offset:560
	;; [unrolled: 1-line block ×3, first 2 shown]
	v_add_co_u32 v141, s1, 0x2800, v137
	v_add_co_ci_u32_e64 v142, s1, 0, v138, s1
	s_clause 0x3
	global_load_dwordx4 v[120:123], v[120:121], off offset:1680
	global_load_dwordx4 v[124:127], v[129:130], off offset:1328
	;; [unrolled: 1-line block ×4, first 2 shown]
	v_add_co_u32 v157, s1, 0x3000, v137
	v_add_co_ci_u32_e64 v158, s1, 0, v138, s1
	s_clause 0x5
	global_load_dwordx4 v[137:140], v[141:142], off offset:960
	global_load_dwordx4 v[141:144], v[141:142], off offset:1520
	;; [unrolled: 1-line block ×6, first 2 shown]
	ds_read_b128 v[161:164], v202
	ds_read_b128 v[165:168], v202 offset:560
	ds_read_b128 v[169:172], v202 offset:1120
	;; [unrolled: 1-line block ×12, first 2 shown]
	s_waitcnt vmcnt(12) lgkmcnt(12)
	v_mul_f64 v[219:220], v[163:164], v[110:111]
	v_mul_f64 v[110:111], v[161:162], v[110:111]
	s_waitcnt vmcnt(11) lgkmcnt(11)
	v_mul_f64 v[224:225], v[167:168], v[114:115]
	v_mul_f64 v[114:115], v[165:166], v[114:115]
	s_waitcnt vmcnt(10) lgkmcnt(10)
	v_mul_f64 v[226:227], v[171:172], v[118:119]
	v_mul_f64 v[118:119], v[169:170], v[118:119]
	s_waitcnt vmcnt(9) lgkmcnt(9)
	v_mul_f64 v[228:229], v[175:176], v[122:123]
	v_mul_f64 v[122:123], v[173:174], v[122:123]
	s_waitcnt vmcnt(8) lgkmcnt(8)
	v_mul_f64 v[230:231], v[179:180], v[126:127]
	v_mul_f64 v[126:127], v[177:178], v[126:127]
	s_waitcnt vmcnt(7) lgkmcnt(7)
	v_mul_f64 v[232:233], v[183:184], v[131:132]
	v_mul_f64 v[131:132], v[181:182], v[131:132]
	s_waitcnt vmcnt(6) lgkmcnt(6)
	v_mul_f64 v[234:235], v[187:188], v[135:136]
	v_mul_f64 v[135:136], v[185:186], v[135:136]
	s_waitcnt vmcnt(5) lgkmcnt(5)
	v_mul_f64 v[236:237], v[191:192], v[139:140]
	v_mul_f64 v[139:140], v[189:190], v[139:140]
	s_waitcnt vmcnt(4) lgkmcnt(4)
	v_mul_f64 v[238:239], v[195:196], v[143:144]
	v_mul_f64 v[143:144], v[193:194], v[143:144]
	s_waitcnt vmcnt(3) lgkmcnt(3)
	v_mul_f64 v[240:241], v[199:200], v[147:148]
	v_mul_f64 v[147:148], v[197:198], v[147:148]
	s_waitcnt vmcnt(2) lgkmcnt(2)
	v_mul_f64 v[242:243], v[209:210], v[151:152]
	v_mul_f64 v[151:152], v[207:208], v[151:152]
	s_waitcnt vmcnt(1) lgkmcnt(1)
	v_mul_f64 v[244:245], v[213:214], v[155:156]
	v_mul_f64 v[155:156], v[211:212], v[155:156]
	s_waitcnt vmcnt(0) lgkmcnt(0)
	v_mul_f64 v[246:247], v[217:218], v[159:160]
	v_mul_f64 v[248:249], v[215:216], v[159:160]
	v_fma_f64 v[159:160], v[161:162], v[108:109], -v[219:220]
	v_fma_f64 v[161:162], v[163:164], v[108:109], v[110:111]
	v_fma_f64 v[108:109], v[165:166], v[112:113], -v[224:225]
	v_fma_f64 v[110:111], v[167:168], v[112:113], v[114:115]
	;; [unrolled: 2-line block ×13, first 2 shown]
	ds_write_b128 v202, v[159:162]
	ds_write_b128 v202, v[108:111] offset:560
	ds_write_b128 v202, v[112:115] offset:1120
	;; [unrolled: 1-line block ×12, first 2 shown]
.LBB0_13:
	s_or_b32 exec_lo, exec_lo, s2
	s_waitcnt lgkmcnt(0)
	s_barrier
	buffer_gl0_inv
	s_and_saveexec_b32 s1, vcc_lo
	s_cbranch_execz .LBB0_15
; %bb.14:
	ds_read_b128 v[80:83], v202
	ds_read_b128 v[104:107], v202 offset:560
	ds_read_b128 v[100:103], v202 offset:1120
	;; [unrolled: 1-line block ×12, first 2 shown]
.LBB0_15:
	s_or_b32 exec_lo, exec_lo, s1
	s_waitcnt lgkmcnt(0)
	v_add_f64 v[145:146], v[106:107], -v[2:3]
	s_mov_b32 s10, 0x2ef20147
	s_mov_b32 s11, 0xbfedeba7
	v_add_f64 v[147:148], v[106:107], v[2:3]
	v_add_f64 v[143:144], v[104:105], v[0:1]
	v_add_f64 v[133:134], v[102:103], -v[6:7]
	s_mov_b32 s2, 0xb2365da1
	s_mov_b32 s16, 0x24c2f84
	;; [unrolled: 1-line block ×12, first 2 shown]
	v_add_f64 v[149:150], v[104:105], -v[0:1]
	v_add_f64 v[129:130], v[102:103], v[6:7]
	v_add_f64 v[131:132], v[100:101], v[4:5]
	s_mov_b32 s26, 0x66966769
	v_mul_f64 v[165:166], v[145:146], s[10:11]
	v_mul_f64 v[108:109], v[145:146], s[16:17]
	;; [unrolled: 1-line block ×6, first 2 shown]
	s_mov_b32 s22, 0xebaa3ed8
	s_mov_b32 s30, 0x4267c47c
	;; [unrolled: 1-line block ×9, first 2 shown]
	v_mul_f64 v[169:170], v[147:148], s[2:3]
	v_add_f64 v[135:136], v[100:101], -v[4:5]
	v_mul_f64 v[141:142], v[133:134], s[26:27]
	v_add_f64 v[137:138], v[98:99], v[10:11]
	v_mul_f64 v[151:152], v[129:130], s[22:23]
	v_add_f64 v[139:140], v[98:99], -v[10:11]
	v_mul_f64 v[153:154], v[133:134], s[30:31]
	v_fma_f64 v[116:117], v[143:144], s[2:3], -v[165:166]
	v_fma_f64 v[120:121], v[143:144], s[8:9], v[108:109]
	v_fma_f64 v[124:125], v[143:144], s[20:21], v[112:113]
	;; [unrolled: 1-line block ×5, first 2 shown]
	v_fma_f64 v[112:113], v[143:144], s[20:21], -v[112:113]
	v_fma_f64 v[114:115], v[149:150], s[18:19], v[114:115]
	v_mul_f64 v[155:156], v[129:130], s[28:29]
	v_fma_f64 v[157:158], v[131:132], s[8:9], -v[159:160]
	s_mov_b32 s38, 0x42a4c3d2
	s_mov_b32 s36, 0x1ea71119
	;; [unrolled: 1-line block ×8, first 2 shown]
	v_fma_f64 v[118:119], v[149:150], s[10:11], v[169:170]
	v_fma_f64 v[108:109], v[143:144], s[8:9], -v[108:109]
	v_mul_f64 v[161:162], v[129:130], s[8:9]
	v_fma_f64 v[167:168], v[131:132], s[22:23], v[141:142]
	v_add_f64 v[116:117], v[80:81], v[116:117]
	v_add_f64 v[120:121], v[80:81], v[120:121]
	;; [unrolled: 1-line block ×5, first 2 shown]
	v_fma_f64 v[171:172], v[135:136], s[34:35], v[151:152]
	v_add_f64 v[112:113], v[80:81], v[112:113]
	v_add_f64 v[114:115], v[82:83], v[114:115]
	v_fma_f64 v[173:174], v[131:132], s[22:23], -v[141:142]
	v_fma_f64 v[175:176], v[135:136], s[26:27], v[151:152]
	v_fma_f64 v[177:178], v[131:132], s[28:29], v[153:154]
	;; [unrolled: 1-line block ×3, first 2 shown]
	v_fma_f64 v[185:186], v[131:132], s[28:29], -v[153:154]
	v_fma_f64 v[155:156], v[135:136], s[30:31], v[155:156]
	v_add_f64 v[141:142], v[96:97], v[8:9]
	v_add_f64 v[151:152], v[96:97], -v[8:9]
	v_mul_f64 v[179:180], v[139:140], s[30:31]
	v_mul_f64 v[187:188], v[139:140], s[38:39]
	;; [unrolled: 1-line block ×3, first 2 shown]
	s_mov_b32 s45, 0x3fea55e2
	s_mov_b32 s44, s38
	v_add_f64 v[118:119], v[82:83], v[118:119]
	v_add_f64 v[116:117], v[157:158], v[116:117]
	v_add_f64 v[157:158], v[94:95], -v[70:71]
	v_add_f64 v[108:109], v[80:81], v[108:109]
	v_add_f64 v[126:127], v[82:83], v[126:127]
	v_fma_f64 v[163:164], v[135:136], s[24:25], v[161:162]
	v_mul_f64 v[181:182], v[137:138], s[28:29]
	v_mul_f64 v[191:192], v[139:140], s[16:17]
	;; [unrolled: 1-line block ×3, first 2 shown]
	v_add_f64 v[120:121], v[167:168], v[120:121]
	v_add_f64 v[122:123], v[171:172], v[122:123]
	;; [unrolled: 1-line block ×8, first 2 shown]
	v_fma_f64 v[167:168], v[141:142], s[28:29], -v[179:180]
	v_fma_f64 v[175:176], v[141:142], s[36:37], v[187:188]
	v_fma_f64 v[177:178], v[151:152], s[44:45], v[189:190]
	;; [unrolled: 1-line block ×3, first 2 shown]
	s_mov_b32 s47, 0x3fedeba7
	s_mov_b32 s46, s10
	v_mul_f64 v[189:190], v[157:158], s[34:35]
	v_mul_f64 v[199:200], v[157:158], s[40:41]
	v_add_f64 v[108:109], v[173:174], v[108:109]
	v_add_f64 v[118:119], v[163:164], v[118:119]
	;; [unrolled: 1-line block ×3, first 2 shown]
	v_fma_f64 v[171:172], v[151:152], s[30:31], v[181:182]
	v_fma_f64 v[183:184], v[141:142], s[36:37], -v[187:188]
	v_fma_f64 v[187:188], v[141:142], s[8:9], v[191:192]
	v_fma_f64 v[195:196], v[151:152], s[24:25], v[193:194]
	v_fma_f64 v[197:198], v[141:142], s[8:9], -v[191:192]
	v_fma_f64 v[193:194], v[151:152], s[16:17], v[193:194]
	v_add_f64 v[163:164], v[92:93], -v[68:69]
	v_mul_f64 v[191:192], v[153:154], s[22:23]
	v_mul_f64 v[207:208], v[153:154], s[20:21]
	;; [unrolled: 1-line block ×4, first 2 shown]
	v_add_f64 v[116:117], v[167:168], v[116:117]
	v_add_f64 v[173:174], v[90:91], -v[74:75]
	v_add_f64 v[167:168], v[90:91], v[74:75]
	v_add_f64 v[120:121], v[175:176], v[120:121]
	;; [unrolled: 1-line block ×4, first 2 shown]
	v_fma_f64 v[177:178], v[155:156], s[22:23], -v[189:190]
	v_fma_f64 v[185:186], v[155:156], s[20:21], v[199:200]
	v_add_f64 v[175:176], v[88:89], -v[72:73]
	s_barrier
	buffer_gl0_inv
	v_add_f64 v[118:119], v[171:172], v[118:119]
	v_add_f64 v[108:109], v[183:184], v[108:109]
	;; [unrolled: 1-line block ×6, first 2 shown]
	v_fma_f64 v[197:198], v[155:156], s[20:21], -v[199:200]
	v_fma_f64 v[183:184], v[163:164], s[34:35], v[191:192]
	v_fma_f64 v[187:188], v[163:164], s[18:19], v[207:208]
	v_fma_f64 v[199:200], v[163:164], s[40:41], v[207:208]
	v_fma_f64 v[207:208], v[155:156], s[36:37], v[209:210]
	v_fma_f64 v[213:214], v[163:164], s[38:39], v[211:212]
	v_fma_f64 v[209:210], v[155:156], s[36:37], -v[209:210]
	v_fma_f64 v[211:212], v[163:164], s[44:45], v[211:212]
	v_add_f64 v[171:172], v[88:89], v[72:73]
	v_mul_f64 v[193:194], v[173:174], s[40:41]
	v_mul_f64 v[195:196], v[167:168], s[20:21]
	;; [unrolled: 1-line block ×6, first 2 shown]
	v_add_f64 v[116:117], v[177:178], v[116:117]
	v_add_f64 v[120:121], v[185:186], v[120:121]
	v_add_f64 v[185:186], v[86:87], -v[78:79]
	v_add_f64 v[177:178], v[86:87], v[78:79]
	v_add_f64 v[108:109], v[197:198], v[108:109]
	;; [unrolled: 1-line block ×10, first 2 shown]
	v_fma_f64 v[207:208], v[171:172], s[20:21], -v[193:194]
	v_fma_f64 v[209:210], v[175:176], s[40:41], v[195:196]
	v_fma_f64 v[211:212], v[171:172], s[28:29], v[215:216]
	;; [unrolled: 1-line block ×3, first 2 shown]
	v_fma_f64 v[215:216], v[171:172], s[28:29], -v[215:216]
	v_fma_f64 v[217:218], v[175:176], s[30:31], v[217:218]
	v_fma_f64 v[226:227], v[171:172], s[2:3], v[219:220]
	;; [unrolled: 1-line block ×3, first 2 shown]
	v_fma_f64 v[219:220], v[171:172], s[2:3], -v[219:220]
	v_fma_f64 v[224:225], v[175:176], s[10:11], v[224:225]
	v_add_f64 v[187:188], v[84:85], -v[76:77]
	v_mul_f64 v[197:198], v[185:186], s[44:45]
	v_mul_f64 v[199:200], v[177:178], s[36:37]
	;; [unrolled: 1-line block ×6, first 2 shown]
	v_add_f64 v[116:117], v[207:208], v[116:117]
	v_add_f64 v[118:119], v[209:210], v[118:119]
	;; [unrolled: 1-line block ×10, first 2 shown]
	v_fma_f64 v[108:109], v[183:184], s[36:37], -v[197:198]
	v_fma_f64 v[110:111], v[187:188], s[44:45], v[199:200]
	v_fma_f64 v[112:113], v[183:184], s[2:3], v[230:231]
	;; [unrolled: 1-line block ×3, first 2 shown]
	v_fma_f64 v[219:220], v[183:184], s[2:3], -v[230:231]
	v_fma_f64 v[224:225], v[187:188], s[10:11], v[232:233]
	v_fma_f64 v[226:227], v[183:184], s[22:23], v[234:235]
	;; [unrolled: 1-line block ×3, first 2 shown]
	v_fma_f64 v[230:231], v[183:184], s[22:23], -v[234:235]
	v_fma_f64 v[232:233], v[187:188], s[26:27], v[236:237]
	v_add_f64 v[124:125], v[108:109], v[116:117]
	v_add_f64 v[126:127], v[110:111], v[118:119]
	;; [unrolled: 1-line block ×10, first 2 shown]
	s_and_saveexec_b32 s1, vcc_lo
	s_cbranch_execz .LBB0_17
; %bb.16:
	v_add_f64 v[106:107], v[82:83], v[106:107]
	v_add_f64 v[104:105], v[80:81], v[104:105]
	;; [unrolled: 1-line block ×4, first 2 shown]
	v_mul_f64 v[104:105], v[145:146], s[42:43]
	v_add_f64 v[98:99], v[102:103], v[98:99]
	v_add_f64 v[96:97], v[100:101], v[96:97]
	v_mul_f64 v[100:101], v[145:146], s[34:35]
	v_mul_f64 v[102:103], v[145:146], s[38:39]
	v_add_f64 v[94:95], v[98:99], v[94:95]
	v_add_f64 v[92:93], v[96:97], v[92:93]
	v_fma_f64 v[106:107], v[143:144], s[22:23], -v[100:101]
	v_fma_f64 v[100:101], v[143:144], s[22:23], v[100:101]
	v_fma_f64 v[145:146], v[143:144], s[36:37], -v[102:103]
	v_fma_f64 v[102:103], v[143:144], s[36:37], v[102:103]
	v_add_f64 v[90:91], v[94:95], v[90:91]
	v_add_f64 v[88:89], v[92:93], v[88:89]
	v_mul_f64 v[92:93], v[149:150], s[42:43]
	v_add_f64 v[106:107], v[80:81], v[106:107]
	v_add_f64 v[100:101], v[80:81], v[100:101]
	;; [unrolled: 1-line block ×5, first 2 shown]
	v_mul_f64 v[88:89], v[149:150], s[34:35]
	v_mul_f64 v[90:91], v[149:150], s[38:39]
	v_fma_f64 v[98:99], v[147:148], s[28:29], v[92:93]
	v_fma_f64 v[92:93], v[147:148], s[28:29], -v[92:93]
	v_add_f64 v[78:79], v[86:87], v[78:79]
	v_add_f64 v[76:77], v[84:85], v[76:77]
	v_mul_f64 v[84:85], v[149:150], s[10:11]
	v_mul_f64 v[86:87], v[143:144], s[2:3]
	v_fma_f64 v[94:95], v[147:148], s[22:23], v[88:89]
	v_fma_f64 v[88:89], v[147:148], s[22:23], -v[88:89]
	v_fma_f64 v[96:97], v[147:148], s[36:37], v[90:91]
	v_fma_f64 v[90:91], v[147:148], s[36:37], -v[90:91]
	v_fma_f64 v[147:148], v[143:144], s[28:29], -v[104:105]
	v_fma_f64 v[104:105], v[143:144], s[28:29], v[104:105]
	v_add_f64 v[143:144], v[80:81], v[145:146]
	v_add_f64 v[98:99], v[82:83], v[98:99]
	;; [unrolled: 1-line block ×4, first 2 shown]
	v_add_f64 v[84:85], v[169:170], -v[84:85]
	v_add_f64 v[86:87], v[86:87], v[165:166]
	v_add_f64 v[94:95], v[82:83], v[94:95]
	;; [unrolled: 1-line block ×8, first 2 shown]
	v_mul_f64 v[78:79], v[151:152], s[30:31]
	v_mul_f64 v[76:77], v[163:164], s[34:35]
	;; [unrolled: 1-line block ×5, first 2 shown]
	v_add_f64 v[149:150], v[149:150], v[68:69]
	v_add_f64 v[84:85], v[82:83], v[84:85]
	;; [unrolled: 1-line block ×3, first 2 shown]
	v_mul_f64 v[80:81], v[135:136], s[24:25]
	v_mul_f64 v[82:83], v[131:132], s[8:9]
	v_add_f64 v[147:148], v[147:148], v[70:71]
	v_add_f64 v[78:79], v[181:182], -v[78:79]
	v_add_f64 v[76:77], v[191:192], -v[76:77]
	;; [unrolled: 1-line block ×5, first 2 shown]
	v_add_f64 v[82:83], v[82:83], v[159:160]
	v_mul_f64 v[159:160], v[141:142], s[28:29]
	v_add_f64 v[80:81], v[80:81], v[84:85]
	v_add_f64 v[82:83], v[82:83], v[86:87]
	;; [unrolled: 1-line block ×3, first 2 shown]
	v_mul_f64 v[84:85], v[155:156], s[22:23]
	v_mul_f64 v[179:180], v[185:186], s[16:17]
	v_add_f64 v[78:79], v[78:79], v[80:81]
	v_add_f64 v[80:81], v[159:160], v[82:83]
	v_add_f64 v[84:85], v[84:85], v[189:190]
	v_mul_f64 v[82:83], v[171:172], s[20:21]
	v_add_f64 v[76:77], v[76:77], v[78:79]
	v_add_f64 v[78:79], v[84:85], v[80:81]
	;; [unrolled: 1-line block ×3, first 2 shown]
	v_mul_f64 v[80:81], v[183:184], s[36:37]
	v_mul_f64 v[84:85], v[151:152], s[46:47]
	v_add_f64 v[74:75], v[74:75], v[76:77]
	v_add_f64 v[76:77], v[82:83], v[78:79]
	;; [unrolled: 1-line block ×3, first 2 shown]
	v_mul_f64 v[82:83], v[133:134], s[18:19]
	v_fma_f64 v[86:87], v[137:138], s[2:3], v[84:85]
	v_fma_f64 v[84:85], v[137:138], s[2:3], -v[84:85]
	v_add_f64 v[74:75], v[72:73], v[74:75]
	v_add_f64 v[72:73], v[80:81], v[76:77]
	v_mul_f64 v[80:81], v[135:136], s[18:19]
	v_fma_f64 v[78:79], v[131:132], s[20:21], -v[82:83]
	v_fma_f64 v[82:83], v[131:132], s[20:21], v[82:83]
	v_fma_f64 v[76:77], v[129:130], s[20:21], v[80:81]
	v_add_f64 v[78:79], v[78:79], v[106:107]
	v_fma_f64 v[80:81], v[129:130], s[20:21], -v[80:81]
	v_add_f64 v[82:83], v[82:83], v[100:101]
	v_add_f64 v[76:77], v[76:77], v[94:95]
	;; [unrolled: 1-line block ×3, first 2 shown]
	v_mul_f64 v[88:89], v[135:136], s[10:11]
	v_add_f64 v[76:77], v[86:87], v[76:77]
	v_mul_f64 v[86:87], v[139:140], s[46:47]
	v_add_f64 v[80:81], v[84:85], v[80:81]
	v_fma_f64 v[68:69], v[129:130], s[2:3], -v[88:89]
	v_fma_f64 v[94:95], v[141:142], s[2:3], -v[86:87]
	v_fma_f64 v[84:85], v[141:142], s[2:3], v[86:87]
	v_fma_f64 v[86:87], v[183:184], s[8:9], v[179:180]
	v_add_f64 v[68:69], v[68:69], v[90:91]
	v_add_f64 v[78:79], v[94:95], v[78:79]
	v_mul_f64 v[94:95], v[163:164], s[30:31]
	v_add_f64 v[82:83], v[84:85], v[82:83]
	v_fma_f64 v[106:107], v[153:154], s[28:29], v[94:95]
	v_fma_f64 v[84:85], v[153:154], s[28:29], -v[94:95]
	v_mul_f64 v[94:95], v[133:134], s[10:11]
	v_add_f64 v[76:77], v[106:107], v[76:77]
	v_mul_f64 v[106:107], v[157:158], s[30:31]
	v_add_f64 v[80:81], v[84:85], v[80:81]
	v_fma_f64 v[70:71], v[131:132], s[2:3], v[94:95]
	v_fma_f64 v[159:160], v[155:156], s[28:29], -v[106:107]
	v_fma_f64 v[84:85], v[155:156], s[28:29], v[106:107]
	v_add_f64 v[70:71], v[70:71], v[102:103]
	v_add_f64 v[78:79], v[159:160], v[78:79]
	v_mul_f64 v[159:160], v[175:176], s[38:39]
	v_add_f64 v[82:83], v[84:85], v[82:83]
	v_fma_f64 v[161:162], v[167:168], s[36:37], v[159:160]
	v_fma_f64 v[84:85], v[167:168], s[36:37], -v[159:160]
	v_add_f64 v[76:77], v[161:162], v[76:77]
	v_mul_f64 v[161:162], v[173:174], s[38:39]
	v_add_f64 v[80:81], v[84:85], v[80:81]
	v_fma_f64 v[84:85], v[171:172], s[36:37], v[161:162]
	v_fma_f64 v[165:166], v[171:172], s[36:37], -v[161:162]
	v_add_f64 v[84:85], v[84:85], v[82:83]
	v_fma_f64 v[82:83], v[177:178], s[8:9], -v[169:170]
	v_add_f64 v[165:166], v[165:166], v[78:79]
	v_fma_f64 v[78:79], v[177:178], s[8:9], v[169:170]
	v_mul_f64 v[169:170], v[187:188], s[30:31]
	v_add_f64 v[82:83], v[82:83], v[80:81]
	v_add_f64 v[80:81], v[86:87], v[84:85]
	v_fma_f64 v[84:85], v[129:130], s[2:3], v[88:89]
	v_fma_f64 v[86:87], v[131:132], s[2:3], -v[94:95]
	v_add_f64 v[78:79], v[78:79], v[76:77]
	v_fma_f64 v[76:77], v[183:184], s[8:9], -v[179:180]
	v_mul_f64 v[179:180], v[185:186], s[30:31]
	v_mul_f64 v[94:95], v[135:136], s[38:39]
	v_add_f64 v[84:85], v[84:85], v[96:97]
	v_mul_f64 v[96:97], v[151:152], s[18:19]
	v_add_f64 v[86:87], v[86:87], v[143:144]
	v_add_f64 v[76:77], v[76:77], v[165:166]
	v_fma_f64 v[90:91], v[183:184], s[28:29], v[179:180]
	v_fma_f64 v[100:101], v[137:138], s[20:21], v[96:97]
	v_fma_f64 v[88:89], v[137:138], s[20:21], -v[96:97]
	v_mul_f64 v[96:97], v[151:152], s[34:35]
	v_add_f64 v[84:85], v[100:101], v[84:85]
	v_mul_f64 v[100:101], v[139:140], s[18:19]
	v_add_f64 v[68:69], v[88:89], v[68:69]
	v_fma_f64 v[106:107], v[141:142], s[20:21], -v[100:101]
	v_fma_f64 v[88:89], v[141:142], s[20:21], v[100:101]
	v_fma_f64 v[100:101], v[137:138], s[22:23], -v[96:97]
	v_add_f64 v[86:87], v[106:107], v[86:87]
	v_mul_f64 v[106:107], v[163:164], s[24:25]
	v_add_f64 v[70:71], v[88:89], v[70:71]
	v_fma_f64 v[143:144], v[153:154], s[8:9], v[106:107]
	v_fma_f64 v[88:89], v[153:154], s[8:9], -v[106:107]
	v_add_f64 v[84:85], v[143:144], v[84:85]
	v_mul_f64 v[143:144], v[157:158], s[24:25]
	v_add_f64 v[68:69], v[88:89], v[68:69]
	v_fma_f64 v[159:160], v[155:156], s[8:9], -v[143:144]
	v_fma_f64 v[88:89], v[155:156], s[8:9], v[143:144]
	v_mul_f64 v[143:144], v[185:186], s[18:19]
	v_add_f64 v[86:87], v[159:160], v[86:87]
	v_mul_f64 v[159:160], v[175:176], s[26:27]
	v_add_f64 v[70:71], v[88:89], v[70:71]
	v_fma_f64 v[161:162], v[167:168], s[22:23], v[159:160]
	v_fma_f64 v[88:89], v[167:168], s[22:23], -v[159:160]
	v_add_f64 v[84:85], v[161:162], v[84:85]
	v_mul_f64 v[161:162], v[173:174], s[26:27]
	v_add_f64 v[68:69], v[88:89], v[68:69]
	v_fma_f64 v[88:89], v[171:172], s[22:23], v[161:162]
	v_fma_f64 v[165:166], v[171:172], s[22:23], -v[161:162]
	v_add_f64 v[88:89], v[88:89], v[70:71]
	v_fma_f64 v[70:71], v[177:178], s[28:29], -v[169:170]
	v_add_f64 v[165:166], v[165:166], v[86:87]
	v_fma_f64 v[86:87], v[177:178], s[28:29], v[169:170]
	v_add_f64 v[70:71], v[70:71], v[68:69]
	v_add_f64 v[68:69], v[90:91], v[88:89]
	v_add_f64 v[90:91], v[149:150], v[8:9]
	v_fma_f64 v[8:9], v[129:130], s[36:37], -v[94:95]
	v_add_f64 v[88:89], v[147:148], v[10:11]
	v_add_f64 v[86:87], v[86:87], v[84:85]
	v_fma_f64 v[84:85], v[183:184], s[28:29], -v[179:180]
	v_add_f64 v[90:91], v[90:91], v[4:5]
	v_add_f64 v[8:9], v[8:9], v[92:93]
	v_mul_f64 v[92:93], v[133:134], s[38:39]
	v_add_f64 v[88:89], v[88:89], v[6:7]
	v_fma_f64 v[4:5], v[129:130], s[36:37], v[94:95]
	v_add_f64 v[84:85], v[84:85], v[165:166]
	v_add_f64 v[0:1], v[90:91], v[0:1]
	;; [unrolled: 1-line block ×3, first 2 shown]
	v_fma_f64 v[10:11], v[131:132], s[36:37], v[92:93]
	v_mul_f64 v[100:101], v[139:140], s[34:35]
	v_fma_f64 v[6:7], v[131:132], s[36:37], -v[92:93]
	v_fma_f64 v[92:93], v[137:138], s[22:23], v[96:97]
	v_add_f64 v[4:5], v[4:5], v[98:99]
	v_mul_f64 v[139:140], v[187:188], s[18:19]
	v_add_f64 v[2:3], v[88:89], v[2:3]
	v_and_b32_e32 v88, 0xffff, v205
	v_lshl_add_u32 v88, v88, 4, v223
	v_add_f64 v[10:11], v[10:11], v[104:105]
	v_fma_f64 v[102:103], v[141:142], s[22:23], v[100:101]
	v_fma_f64 v[94:95], v[141:142], s[22:23], -v[100:101]
	v_add_f64 v[6:7], v[6:7], v[145:146]
	v_add_f64 v[4:5], v[92:93], v[4:5]
	;; [unrolled: 1-line block ×3, first 2 shown]
	v_mul_f64 v[102:103], v[163:164], s[10:11]
	v_add_f64 v[6:7], v[94:95], v[6:7]
	v_fma_f64 v[104:105], v[153:154], s[2:3], -v[102:103]
	v_fma_f64 v[96:97], v[153:154], s[2:3], v[102:103]
	v_add_f64 v[8:9], v[104:105], v[8:9]
	v_mul_f64 v[104:105], v[157:158], s[10:11]
	v_add_f64 v[4:5], v[96:97], v[4:5]
	v_fma_f64 v[96:97], v[177:178], s[20:21], v[139:140]
	v_fma_f64 v[106:107], v[155:156], s[2:3], v[104:105]
	v_fma_f64 v[98:99], v[155:156], s[2:3], -v[104:105]
	v_add_f64 v[10:11], v[106:107], v[10:11]
	v_mul_f64 v[106:107], v[175:176], s[16:17]
	v_add_f64 v[6:7], v[98:99], v[6:7]
	v_fma_f64 v[98:99], v[183:184], s[20:21], -v[143:144]
	v_fma_f64 v[133:134], v[167:168], s[8:9], -v[106:107]
	v_fma_f64 v[92:93], v[167:168], s[8:9], v[106:107]
	v_add_f64 v[8:9], v[133:134], v[8:9]
	v_mul_f64 v[133:134], v[173:174], s[16:17]
	v_add_f64 v[4:5], v[92:93], v[4:5]
	v_fma_f64 v[135:136], v[171:172], s[8:9], v[133:134]
	v_fma_f64 v[94:95], v[171:172], s[8:9], -v[133:134]
	v_add_f64 v[135:136], v[135:136], v[10:11]
	v_fma_f64 v[10:11], v[177:178], s[20:21], -v[139:140]
	v_add_f64 v[92:93], v[94:95], v[6:7]
	v_add_f64 v[6:7], v[96:97], v[4:5]
	;; [unrolled: 1-line block ×3, first 2 shown]
	v_fma_f64 v[8:9], v[183:184], s[20:21], v[143:144]
	v_add_f64 v[4:5], v[98:99], v[92:93]
	v_add_f64 v[8:9], v[8:9], v[135:136]
	ds_write_b128 v88, v[108:111] offset:80
	ds_write_b128 v88, v[112:115] offset:96
	;; [unrolled: 1-line block ×11, first 2 shown]
	ds_write_b128 v88, v[0:3]
	ds_write_b128 v88, v[4:7] offset:192
.LBB0_17:
	s_or_b32 exec_lo, exec_lo, s1
	s_waitcnt lgkmcnt(0)
	s_barrier
	buffer_gl0_inv
	ds_read_b128 v[0:3], v201
	ds_read_b128 v[72:75], v201 offset:1456
	ds_read_b128 v[4:7], v201 offset:2912
	;; [unrolled: 1-line block ×4, first 2 shown]
	s_and_saveexec_b32 s1, s0
	s_cbranch_execz .LBB0_19
; %bb.18:
	ds_read_b128 v[108:111], v201 offset:1040
	ds_read_b128 v[112:115], v201 offset:2496
	;; [unrolled: 1-line block ×5, first 2 shown]
.LBB0_19:
	s_or_b32 exec_lo, exec_lo, s1
	s_waitcnt lgkmcnt(3)
	v_mul_f64 v[76:77], v[42:43], v[74:75]
	s_waitcnt lgkmcnt(2)
	v_mul_f64 v[78:79], v[34:35], v[6:7]
	;; [unrolled: 2-line block ×3, first 2 shown]
	v_mul_f64 v[42:43], v[42:43], v[72:73]
	s_waitcnt lgkmcnt(0)
	v_mul_f64 v[82:83], v[38:39], v[70:71]
	v_mul_f64 v[34:35], v[34:35], v[4:5]
	;; [unrolled: 1-line block ×4, first 2 shown]
	s_mov_b32 s2, 0x134454ff
	s_mov_b32 s3, 0xbfee6f0e
	;; [unrolled: 1-line block ×10, first 2 shown]
	s_barrier
	buffer_gl0_inv
	v_fma_f64 v[72:73], v[40:41], v[72:73], v[76:77]
	v_fma_f64 v[4:5], v[32:33], v[4:5], v[78:79]
	;; [unrolled: 1-line block ×3, first 2 shown]
	v_fma_f64 v[40:41], v[40:41], v[74:75], -v[42:43]
	v_fma_f64 v[42:43], v[36:37], v[68:69], v[82:83]
	v_fma_f64 v[6:7], v[32:33], v[6:7], -v[34:35]
	v_fma_f64 v[10:11], v[28:29], v[10:11], -v[30:31]
	;; [unrolled: 1-line block ×3, first 2 shown]
	v_add_f64 v[38:39], v[0:1], v[72:73]
	v_add_f64 v[30:31], v[4:5], v[8:9]
	v_add_f64 v[74:75], v[2:3], v[40:41]
	v_add_f64 v[32:33], v[72:73], v[42:43]
	v_add_f64 v[76:77], v[72:73], -v[42:43]
	v_add_f64 v[34:35], v[6:7], v[10:11]
	v_add_f64 v[36:37], v[40:41], v[28:29]
	v_add_f64 v[68:69], v[40:41], -v[28:29]
	v_add_f64 v[70:71], v[6:7], -v[10:11]
	;; [unrolled: 1-line block ×8, first 2 shown]
	v_fma_f64 v[30:31], v[30:31], -0.5, v[0:1]
	v_add_f64 v[6:7], v[74:75], v[6:7]
	v_fma_f64 v[0:1], v[32:33], -0.5, v[0:1]
	v_add_f64 v[32:33], v[4:5], -v[8:9]
	v_fma_f64 v[34:35], v[34:35], -0.5, v[2:3]
	v_fma_f64 v[2:3], v[36:37], -0.5, v[2:3]
	v_add_f64 v[36:37], v[72:73], -v[4:5]
	v_add_f64 v[72:73], v[4:5], -v[72:73]
	v_add_f64 v[4:5], v[38:39], v[4:5]
	v_add_f64 v[40:41], v[40:41], v[86:87]
	v_fma_f64 v[38:39], v[68:69], s[2:3], v[30:31]
	v_fma_f64 v[30:31], v[68:69], s[8:9], v[30:31]
	;; [unrolled: 1-line block ×8, first 2 shown]
	v_add_f64 v[4:5], v[4:5], v[8:9]
	v_add_f64 v[6:7], v[6:7], v[10:11]
	;; [unrolled: 1-line block ×5, first 2 shown]
	v_fma_f64 v[8:9], v[70:71], s[16:17], v[38:39]
	v_fma_f64 v[10:11], v[70:71], s[10:11], v[30:31]
	;; [unrolled: 1-line block ×8, first 2 shown]
	v_add_f64 v[0:1], v[4:5], v[42:43]
	v_add_f64 v[2:3], v[6:7], v[28:29]
	v_fma_f64 v[4:5], v[36:37], s[18:19], v[8:9]
	v_fma_f64 v[8:9], v[36:37], s[18:19], v[10:11]
	v_fma_f64 v[28:29], v[72:73], s[18:19], v[30:31]
	v_fma_f64 v[32:33], v[72:73], s[18:19], v[38:39]
	v_fma_f64 v[6:7], v[78:79], s[18:19], v[68:69]
	v_fma_f64 v[30:31], v[40:41], s[18:19], v[70:71]
	v_fma_f64 v[34:35], v[40:41], s[18:19], v[74:75]
	v_fma_f64 v[10:11], v[78:79], s[18:19], v[76:77]
	ds_write_b128 v206, v[0:3]
	ds_write_b128 v206, v[4:7] offset:208
	ds_write_b128 v206, v[28:31] offset:416
	;; [unrolled: 1-line block ×4, first 2 shown]
	s_and_saveexec_b32 s1, s0
	s_cbranch_execz .LBB0_21
; %bb.20:
	v_mul_f64 v[0:1], v[26:27], v[116:117]
	v_mul_f64 v[2:3], v[14:15], v[112:113]
	;; [unrolled: 1-line block ×8, first 2 shown]
	v_fma_f64 v[0:1], v[24:25], v[118:119], -v[0:1]
	v_fma_f64 v[2:3], v[12:13], v[114:115], -v[2:3]
	v_fma_f64 v[4:5], v[16:17], v[126:127], -v[4:5]
	v_fma_f64 v[6:7], v[20:21], v[122:123], -v[6:7]
	v_fma_f64 v[8:9], v[24:25], v[116:117], v[8:9]
	v_fma_f64 v[10:11], v[20:21], v[120:121], v[10:11]
	;; [unrolled: 1-line block ×4, first 2 shown]
	v_add_f64 v[28:29], v[110:111], v[2:3]
	v_add_f64 v[16:17], v[2:3], v[4:5]
	;; [unrolled: 1-line block ×3, first 2 shown]
	v_add_f64 v[32:33], v[2:3], -v[4:5]
	v_add_f64 v[20:21], v[8:9], v[10:11]
	v_add_f64 v[30:31], v[108:109], v[12:13]
	;; [unrolled: 1-line block ×3, first 2 shown]
	v_add_f64 v[24:25], v[8:9], -v[10:11]
	v_add_f64 v[26:27], v[12:13], -v[14:15]
	;; [unrolled: 1-line block ×11, first 2 shown]
	v_add_f64 v[0:1], v[28:29], v[0:1]
	v_fma_f64 v[16:17], v[16:17], -0.5, v[110:111]
	v_fma_f64 v[18:19], v[18:19], -0.5, v[110:111]
	;; [unrolled: 1-line block ×3, first 2 shown]
	v_add_f64 v[8:9], v[30:31], v[8:9]
	v_fma_f64 v[22:23], v[22:23], -0.5, v[108:109]
	v_add_f64 v[36:37], v[36:37], v[38:39]
	v_add_f64 v[38:39], v[2:3], v[40:41]
	;; [unrolled: 1-line block ×5, first 2 shown]
	v_fma_f64 v[28:29], v[24:25], s[8:9], v[16:17]
	v_fma_f64 v[16:17], v[24:25], s[2:3], v[16:17]
	;; [unrolled: 1-line block ×8, first 2 shown]
	v_add_f64 v[6:7], v[8:9], v[10:11]
	v_add_f64 v[2:3], v[0:1], v[4:5]
	v_fma_f64 v[8:9], v[26:27], s[16:17], v[28:29]
	v_fma_f64 v[10:11], v[26:27], s[10:11], v[16:17]
	;; [unrolled: 1-line block ×8, first 2 shown]
	v_add_f64 v[0:1], v[6:7], v[14:15]
	v_mov_b32_e32 v28, 0x41
	v_fma_f64 v[6:7], v[36:37], s[18:19], v[8:9]
	v_fma_f64 v[10:11], v[36:37], s[18:19], v[10:11]
	v_fma_f64 v[14:15], v[38:39], s[18:19], v[16:17]
	v_fma_f64 v[18:19], v[38:39], s[18:19], v[18:19]
	v_fma_f64 v[16:17], v[12:13], s[18:19], v[24:25]
	v_fma_f64 v[8:9], v[40:41], s[18:19], v[26:27]
	v_fma_f64 v[4:5], v[40:41], s[18:19], v[22:23]
	v_fma_f64 v[12:13], v[12:13], s[18:19], v[20:21]
	v_mul_u32_u24_sdwa v20, v203, v28 dst_sel:DWORD dst_unused:UNUSED_PAD src0_sel:WORD_0 src1_sel:DWORD
	v_add_nc_u32_sdwa v20, v20, v204 dst_sel:DWORD dst_unused:UNUSED_PAD src0_sel:DWORD src1_sel:BYTE_0
	v_lshl_add_u32 v20, v20, 4, v223
	ds_write_b128 v20, v[0:3]
	ds_write_b128 v20, v[16:19] offset:208
	ds_write_b128 v20, v[8:11] offset:416
	;; [unrolled: 1-line block ×4, first 2 shown]
.LBB0_21:
	s_or_b32 exec_lo, exec_lo, s1
	s_waitcnt lgkmcnt(0)
	s_barrier
	buffer_gl0_inv
	ds_read_b128 v[0:3], v201 offset:1040
	ds_read_b128 v[4:7], v201 offset:2080
	;; [unrolled: 1-line block ×6, first 2 shown]
	s_mov_b32 s0, 0x37e14327
	s_mov_b32 s1, 0x3fe948f6
	;; [unrolled: 1-line block ×10, first 2 shown]
	s_waitcnt lgkmcnt(5)
	v_mul_f64 v[24:25], v[50:51], v[2:3]
	v_mul_f64 v[26:27], v[50:51], v[0:1]
	s_waitcnt lgkmcnt(4)
	v_mul_f64 v[28:29], v[46:47], v[6:7]
	v_mul_f64 v[30:31], v[46:47], v[4:5]
	;; [unrolled: 3-line block ×6, first 2 shown]
	v_fma_f64 v[0:1], v[48:49], v[0:1], v[24:25]
	v_fma_f64 v[2:3], v[48:49], v[2:3], -v[26:27]
	v_fma_f64 v[4:5], v[44:45], v[4:5], v[28:29]
	v_fma_f64 v[6:7], v[44:45], v[6:7], -v[30:31]
	;; [unrolled: 2-line block ×6, first 2 shown]
	v_add_f64 v[24:25], v[0:1], v[8:9]
	v_add_f64 v[26:27], v[2:3], v[10:11]
	;; [unrolled: 1-line block ×4, first 2 shown]
	v_add_f64 v[4:5], v[4:5], -v[12:13]
	v_add_f64 v[6:7], v[6:7], -v[14:15]
	v_add_f64 v[32:33], v[16:17], v[20:21]
	v_add_f64 v[34:35], v[18:19], v[22:23]
	v_add_f64 v[12:13], v[20:21], -v[16:17]
	v_add_f64 v[14:15], v[22:23], -v[18:19]
	;; [unrolled: 1-line block ×4, first 2 shown]
	ds_read_b128 v[0:3], v201
	v_add_f64 v[16:17], v[28:29], v[24:25]
	v_add_f64 v[18:19], v[30:31], v[26:27]
	v_add_f64 v[20:21], v[24:25], -v[32:33]
	v_add_f64 v[22:23], v[26:27], -v[34:35]
	;; [unrolled: 1-line block ×10, first 2 shown]
	v_add_f64 v[4:5], v[12:13], v[4:5]
	v_add_f64 v[6:7], v[14:15], v[6:7]
	v_add_f64 v[12:13], v[8:9], -v[12:13]
	v_add_f64 v[14:15], v[10:11], -v[14:15]
	v_add_f64 v[16:17], v[32:33], v[16:17]
	v_add_f64 v[18:19], v[34:35], v[18:19]
	v_mul_f64 v[20:21], v[20:21], s[0:1]
	v_mul_f64 v[22:23], v[22:23], s[0:1]
	s_mov_b32 s0, 0x429ad128
	v_mul_f64 v[28:29], v[36:37], s[2:3]
	v_mul_f64 v[30:31], v[38:39], s[2:3]
	;; [unrolled: 1-line block ×4, first 2 shown]
	s_mov_b32 s1, 0xbfebfeb5
	s_mov_b32 s8, 0xaaaaaaaa
	v_mul_f64 v[40:41], v[44:45], s[0:1]
	v_mul_f64 v[42:43], v[46:47], s[0:1]
	s_mov_b32 s9, 0xbff2aaaa
	v_add_f64 v[4:5], v[4:5], v[8:9]
	v_add_f64 v[6:7], v[6:7], v[10:11]
	s_waitcnt lgkmcnt(0)
	v_add_f64 v[0:1], v[0:1], v[16:17]
	v_add_f64 v[2:3], v[2:3], v[18:19]
	v_fma_f64 v[8:9], v[36:37], s[2:3], v[20:21]
	v_fma_f64 v[10:11], v[38:39], s[2:3], v[22:23]
	v_fma_f64 v[28:29], v[24:25], s[10:11], -v[28:29]
	v_fma_f64 v[30:31], v[26:27], s[10:11], -v[30:31]
	s_mov_b32 s11, 0xbfe77f67
	v_fma_f64 v[36:37], v[12:13], s[16:17], v[32:33]
	v_fma_f64 v[38:39], v[14:15], s[16:17], v[34:35]
	s_mov_b32 s17, 0x3fd5d0dc
	v_fma_f64 v[20:21], v[24:25], s[10:11], -v[20:21]
	v_fma_f64 v[12:13], v[12:13], s[16:17], -v[40:41]
	;; [unrolled: 1-line block ×6, first 2 shown]
	s_mov_b32 s0, 0x37c3f68c
	s_mov_b32 s1, 0xbfdc38aa
	v_fma_f64 v[16:17], v[16:17], s[8:9], v[0:1]
	v_fma_f64 v[18:19], v[18:19], s[8:9], v[2:3]
	v_fma_f64 v[26:27], v[4:5], s[0:1], v[36:37]
	v_fma_f64 v[24:25], v[6:7], s[0:1], v[38:39]
	v_fma_f64 v[36:37], v[4:5], s[0:1], v[12:13]
	v_fma_f64 v[38:39], v[6:7], s[0:1], v[14:15]
	v_fma_f64 v[32:33], v[4:5], s[0:1], v[32:33]
	v_fma_f64 v[34:35], v[6:7], s[0:1], v[34:35]
	v_add_f64 v[40:41], v[8:9], v[16:17]
	v_add_f64 v[42:43], v[10:11], v[18:19]
	;; [unrolled: 1-line block ×7, first 2 shown]
	v_add_f64 v[6:7], v[42:43], -v[26:27]
	v_add_f64 v[8:9], v[38:39], v[20:21]
	v_add_f64 v[10:11], v[22:23], -v[36:37]
	v_add_f64 v[12:13], v[16:17], -v[34:35]
	v_add_f64 v[14:15], v[32:33], v[18:19]
	v_add_f64 v[16:17], v[34:35], v[16:17]
	v_add_f64 v[18:19], v[18:19], -v[32:33]
	v_add_f64 v[20:21], v[20:21], -v[38:39]
	v_add_f64 v[22:23], v[36:37], v[22:23]
	v_add_f64 v[24:25], v[40:41], -v[24:25]
	v_add_f64 v[26:27], v[26:27], v[42:43]
	ds_write_b128 v202, v[0:3]
	ds_write_b128 v202, v[4:7] offset:1040
	ds_write_b128 v202, v[8:11] offset:2080
	;; [unrolled: 1-line block ×6, first 2 shown]
	s_waitcnt lgkmcnt(0)
	s_barrier
	buffer_gl0_inv
	s_and_b32 exec_lo, exec_lo, vcc_lo
	s_cbranch_execz .LBB0_23
; %bb.22:
	v_add_co_u32 v36, s0, s14, v222
	v_add_co_ci_u32_e64 v37, null, s15, 0, s0
	s_clause 0x3
	global_load_dwordx4 v[0:3], v222, s[14:15]
	global_load_dwordx4 v[4:7], v222, s[14:15] offset:560
	global_load_dwordx4 v[8:11], v222, s[14:15] offset:1120
	;; [unrolled: 1-line block ×3, first 2 shown]
	v_add_co_u32 v28, vcc_lo, 0x800, v36
	v_add_co_ci_u32_e32 v29, vcc_lo, 0, v37, vcc_lo
	v_add_co_u32 v40, vcc_lo, 0x1000, v36
	v_add_co_ci_u32_e32 v41, vcc_lo, 0, v37, vcc_lo
	v_add_co_u32 v96, vcc_lo, 0x1800, v36
	s_clause 0x4
	global_load_dwordx4 v[16:19], v[28:29], off offset:192
	global_load_dwordx4 v[20:23], v[28:29], off offset:752
	global_load_dwordx4 v[24:27], v[28:29], off offset:1312
	global_load_dwordx4 v[28:31], v[28:29], off offset:1872
	global_load_dwordx4 v[32:35], v[40:41], off offset:384
	v_add_co_ci_u32_e32 v97, vcc_lo, 0, v37, vcc_lo
	s_clause 0x2
	global_load_dwordx4 v[36:39], v[40:41], off offset:944
	global_load_dwordx4 v[40:43], v[40:41], off offset:1504
	;; [unrolled: 1-line block ×3, first 2 shown]
	v_mad_u64_u32 v[48:49], null, s6, v128, 0
	v_mad_u64_u32 v[50:51], null, s4, v221, 0
	s_mul_i32 s0, s5, 0x230
	s_mul_hi_u32 s1, s4, 0x230
	s_mul_i32 s2, s4, 0x230
	s_add_i32 s3, s1, s0
	s_mov_b32 s0, 0x12012012
	s_mov_b32 s1, 0x3f620120
	v_mad_u64_u32 v[52:53], null, s7, v128, v[49:50]
	v_mad_u64_u32 v[53:54], null, s5, v221, v[51:52]
	v_mov_b32_e32 v49, v52
	v_lshlrev_b64 v[48:49], 4, v[48:49]
	v_mov_b32_e32 v51, v53
	v_lshlrev_b64 v[50:51], 4, v[50:51]
	v_add_co_u32 v48, vcc_lo, s12, v48
	v_add_co_ci_u32_e32 v49, vcc_lo, s13, v49, vcc_lo
	v_add_co_u32 v98, vcc_lo, v48, v50
	v_add_co_ci_u32_e32 v99, vcc_lo, v49, v51, vcc_lo
	ds_read_b128 v[48:51], v202
	ds_read_b128 v[52:55], v202 offset:560
	ds_read_b128 v[56:59], v202 offset:1120
	;; [unrolled: 1-line block ×11, first 2 shown]
	v_add_co_u32 v100, vcc_lo, v98, s2
	v_add_co_ci_u32_e32 v101, vcc_lo, s3, v99, vcc_lo
	v_add_co_u32 v102, vcc_lo, v100, s2
	v_add_co_ci_u32_e32 v103, vcc_lo, s3, v101, vcc_lo
	;; [unrolled: 2-line block ×9, first 2 shown]
	s_waitcnt vmcnt(11) lgkmcnt(11)
	v_mul_f64 v[118:119], v[50:51], v[2:3]
	v_mul_f64 v[2:3], v[48:49], v[2:3]
	s_waitcnt vmcnt(10) lgkmcnt(10)
	v_mul_f64 v[120:121], v[54:55], v[6:7]
	v_mul_f64 v[6:7], v[52:53], v[6:7]
	;; [unrolled: 3-line block ×12, first 2 shown]
	v_fma_f64 v[48:49], v[48:49], v[0:1], v[118:119]
	v_fma_f64 v[2:3], v[0:1], v[50:51], -v[2:3]
	v_fma_f64 v[50:51], v[52:53], v[4:5], v[120:121]
	v_fma_f64 v[6:7], v[4:5], v[54:55], -v[6:7]
	;; [unrolled: 2-line block ×12, first 2 shown]
	v_mul_f64 v[0:1], v[48:49], s[0:1]
	v_mul_f64 v[2:3], v[2:3], s[0:1]
	;; [unrolled: 1-line block ×24, first 2 shown]
	v_add_co_u32 v48, vcc_lo, v116, s2
	v_add_co_ci_u32_e32 v49, vcc_lo, s3, v117, vcc_lo
	v_add_co_u32 v50, vcc_lo, v48, s2
	v_add_co_ci_u32_e32 v51, vcc_lo, s3, v49, vcc_lo
	global_store_dwordx4 v[98:99], v[0:3], off
	global_store_dwordx4 v[100:101], v[4:7], off
	;; [unrolled: 1-line block ×12, first 2 shown]
	global_load_dwordx4 v[0:3], v[96:97], off offset:576
	ds_read_b128 v[4:7], v202 offset:6720
	s_waitcnt vmcnt(0) lgkmcnt(0)
	v_mul_f64 v[8:9], v[6:7], v[2:3]
	v_mul_f64 v[2:3], v[4:5], v[2:3]
	v_fma_f64 v[4:5], v[4:5], v[0:1], v[8:9]
	v_fma_f64 v[2:3], v[0:1], v[6:7], -v[2:3]
	v_mul_f64 v[0:1], v[4:5], s[0:1]
	v_mul_f64 v[2:3], v[2:3], s[0:1]
	v_add_co_u32 v4, vcc_lo, v50, s2
	v_add_co_ci_u32_e32 v5, vcc_lo, s3, v51, vcc_lo
	global_store_dwordx4 v[4:5], v[0:3], off
.LBB0_23:
	s_endpgm
	.section	.rodata,"a",@progbits
	.p2align	6, 0x0
	.amdhsa_kernel bluestein_single_fwd_len455_dim1_dp_op_CI_CI
		.amdhsa_group_segment_fixed_size 21840
		.amdhsa_private_segment_fixed_size 0
		.amdhsa_kernarg_size 104
		.amdhsa_user_sgpr_count 6
		.amdhsa_user_sgpr_private_segment_buffer 1
		.amdhsa_user_sgpr_dispatch_ptr 0
		.amdhsa_user_sgpr_queue_ptr 0
		.amdhsa_user_sgpr_kernarg_segment_ptr 1
		.amdhsa_user_sgpr_dispatch_id 0
		.amdhsa_user_sgpr_flat_scratch_init 0
		.amdhsa_user_sgpr_private_segment_size 0
		.amdhsa_wavefront_size32 1
		.amdhsa_uses_dynamic_stack 0
		.amdhsa_system_sgpr_private_segment_wavefront_offset 0
		.amdhsa_system_sgpr_workgroup_id_x 1
		.amdhsa_system_sgpr_workgroup_id_y 0
		.amdhsa_system_sgpr_workgroup_id_z 0
		.amdhsa_system_sgpr_workgroup_info 0
		.amdhsa_system_vgpr_workitem_id 0
		.amdhsa_next_free_vgpr 250
		.amdhsa_next_free_sgpr 48
		.amdhsa_reserve_vcc 1
		.amdhsa_reserve_flat_scratch 0
		.amdhsa_float_round_mode_32 0
		.amdhsa_float_round_mode_16_64 0
		.amdhsa_float_denorm_mode_32 3
		.amdhsa_float_denorm_mode_16_64 3
		.amdhsa_dx10_clamp 1
		.amdhsa_ieee_mode 1
		.amdhsa_fp16_overflow 0
		.amdhsa_workgroup_processor_mode 1
		.amdhsa_memory_ordered 1
		.amdhsa_forward_progress 0
		.amdhsa_shared_vgpr_count 0
		.amdhsa_exception_fp_ieee_invalid_op 0
		.amdhsa_exception_fp_denorm_src 0
		.amdhsa_exception_fp_ieee_div_zero 0
		.amdhsa_exception_fp_ieee_overflow 0
		.amdhsa_exception_fp_ieee_underflow 0
		.amdhsa_exception_fp_ieee_inexact 0
		.amdhsa_exception_int_div_zero 0
	.end_amdhsa_kernel
	.text
.Lfunc_end0:
	.size	bluestein_single_fwd_len455_dim1_dp_op_CI_CI, .Lfunc_end0-bluestein_single_fwd_len455_dim1_dp_op_CI_CI
                                        ; -- End function
	.section	.AMDGPU.csdata,"",@progbits
; Kernel info:
; codeLenInByte = 17428
; NumSgprs: 50
; NumVgprs: 250
; ScratchSize: 0
; MemoryBound: 0
; FloatMode: 240
; IeeeMode: 1
; LDSByteSize: 21840 bytes/workgroup (compile time only)
; SGPRBlocks: 6
; VGPRBlocks: 31
; NumSGPRsForWavesPerEU: 50
; NumVGPRsForWavesPerEU: 250
; Occupancy: 4
; WaveLimiterHint : 1
; COMPUTE_PGM_RSRC2:SCRATCH_EN: 0
; COMPUTE_PGM_RSRC2:USER_SGPR: 6
; COMPUTE_PGM_RSRC2:TRAP_HANDLER: 0
; COMPUTE_PGM_RSRC2:TGID_X_EN: 1
; COMPUTE_PGM_RSRC2:TGID_Y_EN: 0
; COMPUTE_PGM_RSRC2:TGID_Z_EN: 0
; COMPUTE_PGM_RSRC2:TIDIG_COMP_CNT: 0
	.text
	.p2alignl 6, 3214868480
	.fill 48, 4, 3214868480
	.type	__hip_cuid_acd9f18e52a53e24,@object ; @__hip_cuid_acd9f18e52a53e24
	.section	.bss,"aw",@nobits
	.globl	__hip_cuid_acd9f18e52a53e24
__hip_cuid_acd9f18e52a53e24:
	.byte	0                               ; 0x0
	.size	__hip_cuid_acd9f18e52a53e24, 1

	.ident	"AMD clang version 19.0.0git (https://github.com/RadeonOpenCompute/llvm-project roc-6.4.0 25133 c7fe45cf4b819c5991fe208aaa96edf142730f1d)"
	.section	".note.GNU-stack","",@progbits
	.addrsig
	.addrsig_sym __hip_cuid_acd9f18e52a53e24
	.amdgpu_metadata
---
amdhsa.kernels:
  - .args:
      - .actual_access:  read_only
        .address_space:  global
        .offset:         0
        .size:           8
        .value_kind:     global_buffer
      - .actual_access:  read_only
        .address_space:  global
        .offset:         8
        .size:           8
        .value_kind:     global_buffer
      - .actual_access:  read_only
        .address_space:  global
        .offset:         16
        .size:           8
        .value_kind:     global_buffer
      - .actual_access:  read_only
        .address_space:  global
        .offset:         24
        .size:           8
        .value_kind:     global_buffer
      - .actual_access:  read_only
        .address_space:  global
        .offset:         32
        .size:           8
        .value_kind:     global_buffer
      - .offset:         40
        .size:           8
        .value_kind:     by_value
      - .address_space:  global
        .offset:         48
        .size:           8
        .value_kind:     global_buffer
      - .address_space:  global
        .offset:         56
        .size:           8
        .value_kind:     global_buffer
      - .address_space:  global
        .offset:         64
        .size:           8
        .value_kind:     global_buffer
      - .address_space:  global
        .offset:         72
        .size:           8
        .value_kind:     global_buffer
      - .offset:         80
        .size:           4
        .value_kind:     by_value
      - .address_space:  global
        .offset:         88
        .size:           8
        .value_kind:     global_buffer
      - .address_space:  global
        .offset:         96
        .size:           8
        .value_kind:     global_buffer
    .group_segment_fixed_size: 21840
    .kernarg_segment_align: 8
    .kernarg_segment_size: 104
    .language:       OpenCL C
    .language_version:
      - 2
      - 0
    .max_flat_workgroup_size: 195
    .name:           bluestein_single_fwd_len455_dim1_dp_op_CI_CI
    .private_segment_fixed_size: 0
    .sgpr_count:     50
    .sgpr_spill_count: 0
    .symbol:         bluestein_single_fwd_len455_dim1_dp_op_CI_CI.kd
    .uniform_work_group_size: 1
    .uses_dynamic_stack: false
    .vgpr_count:     250
    .vgpr_spill_count: 0
    .wavefront_size: 32
    .workgroup_processor_mode: 1
amdhsa.target:   amdgcn-amd-amdhsa--gfx1030
amdhsa.version:
  - 1
  - 2
...

	.end_amdgpu_metadata
